;; amdgpu-corpus repo=zjin-lcf/HeCBench kind=compiled arch=gfx1030 opt=O3
	.amdgcn_target "amdgcn-amd-amdhsa--gfx1030"
	.amdhsa_code_object_version 6
	.text
	.p2align	2                               ; -- Begin function __ockl_fprintf_append_string_n
	.type	__ockl_fprintf_append_string_n,@function
__ockl_fprintf_append_string_n:         ; @__ockl_fprintf_append_string_n
; %bb.0:
	s_waitcnt vmcnt(0) expcnt(0) lgkmcnt(0)
	v_mov_b32_e32 v7, v2
	v_or_b32_e32 v2, 2, v0
	v_cmp_eq_u32_e32 vcc_lo, 0, v6
	v_mov_b32_e32 v8, v3
	v_mbcnt_lo_u32_b32 v33, -1, 0
	s_mov_b32 s15, 0
	s_mov_b32 s4, exec_lo
	v_cndmask_b32_e32 v0, v2, v0, vcc_lo
	v_cmpx_ne_u64_e32 0, v[7:8]
	s_xor_b32 s14, exec_lo, s4
	s_cbranch_execz .LBB0_86
; %bb.1:
	s_load_dwordx2 s[6:7], s[8:9], 0x50
	v_and_b32_e32 v6, 2, v0
	v_mov_b32_e32 v10, 0
	v_and_b32_e32 v0, -3, v0
	v_mov_b32_e32 v11, 2
	v_mov_b32_e32 v12, 1
	s_mov_b32 s16, 0
	s_branch .LBB0_3
.LBB0_2:                                ;   in Loop: Header=BB0_3 Depth=1
	s_or_b32 exec_lo, exec_lo, s12
	v_sub_co_u32 v4, vcc_lo, v4, v29
	v_sub_co_ci_u32_e64 v5, null, v5, v30, vcc_lo
	v_add_co_u32 v7, s4, v7, v29
	v_add_co_ci_u32_e64 v8, null, v8, v30, s4
	v_cmp_eq_u64_e32 vcc_lo, 0, v[4:5]
	s_or_b32 s16, vcc_lo, s16
	s_andn2_b32 exec_lo, exec_lo, s16
	s_cbranch_execz .LBB0_85
.LBB0_3:                                ; =>This Loop Header: Depth=1
                                        ;     Child Loop BB0_6 Depth 2
                                        ;     Child Loop BB0_14 Depth 2
	;; [unrolled: 1-line block ×11, first 2 shown]
	v_cmp_gt_u64_e32 vcc_lo, 56, v[4:5]
	s_mov_b32 s5, exec_lo
	v_cndmask_b32_e32 v30, 0, v5, vcc_lo
	v_cndmask_b32_e32 v29, 56, v4, vcc_lo
	v_add_co_u32 v15, vcc_lo, v7, 8
	v_add_co_ci_u32_e64 v16, null, 0, v8, vcc_lo
	v_cmpx_gt_u64_e32 8, v[4:5]
	s_xor_b32 s5, exec_lo, s5
	s_cbranch_execz .LBB0_9
; %bb.4:                                ;   in Loop: Header=BB0_3 Depth=1
	s_waitcnt vmcnt(0)
	v_mov_b32_e32 v2, 0
	v_mov_b32_e32 v3, 0
	s_mov_b32 s12, exec_lo
	v_cmpx_ne_u64_e32 0, v[4:5]
	s_cbranch_execz .LBB0_8
; %bb.5:                                ;   in Loop: Header=BB0_3 Depth=1
	v_lshlrev_b64 v[13:14], 3, v[29:30]
	v_mov_b32_e32 v2, 0
	v_mov_b32_e32 v15, v8
	;; [unrolled: 1-line block ×4, first 2 shown]
	s_mov_b64 s[10:11], 0
	s_mov_b32 s13, 0
	.p2align	6
.LBB0_6:                                ;   Parent Loop BB0_3 Depth=1
                                        ; =>  This Inner Loop Header: Depth=2
	global_load_ubyte v9, v[14:15], off
	v_mov_b32_e32 v17, s15
	v_add_co_u32 v14, vcc_lo, v14, 1
	v_add_co_ci_u32_e64 v15, null, 0, v15, vcc_lo
	s_waitcnt vmcnt(0)
	v_and_b32_e32 v16, 0xffff, v9
	v_lshlrev_b64 v[16:17], s10, v[16:17]
	s_add_u32 s10, s10, 8
	s_addc_u32 s11, s11, 0
	v_cmp_eq_u32_e64 s4, s10, v13
	v_or_b32_e32 v3, v17, v3
	v_or_b32_e32 v2, v16, v2
	s_or_b32 s13, s4, s13
	s_andn2_b32 exec_lo, exec_lo, s13
	s_cbranch_execnz .LBB0_6
; %bb.7:                                ;   in Loop: Header=BB0_3 Depth=1
	s_or_b32 exec_lo, exec_lo, s13
.LBB0_8:                                ;   in Loop: Header=BB0_3 Depth=1
	s_or_b32 exec_lo, exec_lo, s12
	v_mov_b32_e32 v16, v8
	v_mov_b32_e32 v15, v7
.LBB0_9:                                ;   in Loop: Header=BB0_3 Depth=1
	s_or_saveexec_b32 s4, s5
	v_mov_b32_e32 v9, 0
	s_xor_b32 exec_lo, exec_lo, s4
	s_cbranch_execz .LBB0_11
; %bb.10:                               ;   in Loop: Header=BB0_3 Depth=1
	global_load_dwordx2 v[2:3], v[7:8], off
	v_add_nc_u32_e32 v9, -8, v29
.LBB0_11:                               ;   in Loop: Header=BB0_3 Depth=1
	s_or_b32 exec_lo, exec_lo, s4
	v_add_co_u32 v17, s4, v15, 8
	v_add_co_ci_u32_e64 v18, null, 0, v16, s4
                                        ; implicit-def: $vgpr13_vgpr14
	s_mov_b32 s4, exec_lo
	v_cmpx_gt_u32_e32 8, v9
	s_xor_b32 s12, exec_lo, s4
	s_cbranch_execz .LBB0_17
; %bb.12:                               ;   in Loop: Header=BB0_3 Depth=1
	v_mov_b32_e32 v13, 0
	v_mov_b32_e32 v14, 0
	s_mov_b32 s13, exec_lo
	v_cmpx_ne_u32_e32 0, v9
	s_cbranch_execz .LBB0_16
; %bb.13:                               ;   in Loop: Header=BB0_3 Depth=1
	v_mov_b32_e32 v13, 0
	v_mov_b32_e32 v14, 0
	s_mov_b64 s[4:5], 0
	s_mov_b32 s17, 0
	s_mov_b64 s[10:11], 0
	.p2align	6
.LBB0_14:                               ;   Parent Loop BB0_3 Depth=1
                                        ; =>  This Inner Loop Header: Depth=2
	v_add_co_u32 v17, vcc_lo, v15, s10
	v_add_co_ci_u32_e64 v18, null, s11, v16, vcc_lo
	s_add_u32 s10, s10, 1
	s_addc_u32 s11, s11, 0
	v_cmp_eq_u32_e32 vcc_lo, s10, v9
	global_load_ubyte v17, v[17:18], off
	v_mov_b32_e32 v18, s15
	s_waitcnt vmcnt(0)
	v_and_b32_e32 v17, 0xffff, v17
	v_lshlrev_b64 v[17:18], s4, v[17:18]
	s_add_u32 s4, s4, 8
	s_addc_u32 s5, s5, 0
	s_or_b32 s17, vcc_lo, s17
	v_or_b32_e32 v14, v18, v14
	v_or_b32_e32 v13, v17, v13
	s_andn2_b32 exec_lo, exec_lo, s17
	s_cbranch_execnz .LBB0_14
; %bb.15:                               ;   in Loop: Header=BB0_3 Depth=1
	s_or_b32 exec_lo, exec_lo, s17
.LBB0_16:                               ;   in Loop: Header=BB0_3 Depth=1
	s_or_b32 exec_lo, exec_lo, s13
	v_mov_b32_e32 v18, v16
	v_mov_b32_e32 v17, v15
                                        ; implicit-def: $vgpr9
.LBB0_17:                               ;   in Loop: Header=BB0_3 Depth=1
	s_or_saveexec_b32 s4, s12
	v_mov_b32_e32 v21, 0
	s_xor_b32 exec_lo, exec_lo, s4
	s_cbranch_execz .LBB0_19
; %bb.18:                               ;   in Loop: Header=BB0_3 Depth=1
	global_load_dwordx2 v[13:14], v[15:16], off
	v_add_nc_u32_e32 v21, -8, v9
.LBB0_19:                               ;   in Loop: Header=BB0_3 Depth=1
	s_or_b32 exec_lo, exec_lo, s4
	v_add_co_u32 v19, s4, v17, 8
	v_add_co_ci_u32_e64 v20, null, 0, v18, s4
	s_mov_b32 s4, exec_lo
	v_cmpx_gt_u32_e32 8, v21
	s_xor_b32 s12, exec_lo, s4
	s_cbranch_execz .LBB0_25
; %bb.20:                               ;   in Loop: Header=BB0_3 Depth=1
	v_mov_b32_e32 v15, 0
	v_mov_b32_e32 v16, 0
	s_mov_b32 s13, exec_lo
	v_cmpx_ne_u32_e32 0, v21
	s_cbranch_execz .LBB0_24
; %bb.21:                               ;   in Loop: Header=BB0_3 Depth=1
	v_mov_b32_e32 v15, 0
	v_mov_b32_e32 v16, 0
	s_mov_b64 s[4:5], 0
	s_mov_b32 s17, 0
	s_mov_b64 s[10:11], 0
	.p2align	6
.LBB0_22:                               ;   Parent Loop BB0_3 Depth=1
                                        ; =>  This Inner Loop Header: Depth=2
	v_add_co_u32 v19, vcc_lo, v17, s10
	v_add_co_ci_u32_e64 v20, null, s11, v18, vcc_lo
	s_add_u32 s10, s10, 1
	s_addc_u32 s11, s11, 0
	v_cmp_eq_u32_e32 vcc_lo, s10, v21
	global_load_ubyte v9, v[19:20], off
	v_mov_b32_e32 v20, s15
	s_waitcnt vmcnt(0)
	v_and_b32_e32 v19, 0xffff, v9
	v_lshlrev_b64 v[19:20], s4, v[19:20]
	s_add_u32 s4, s4, 8
	s_addc_u32 s5, s5, 0
	s_or_b32 s17, vcc_lo, s17
	v_or_b32_e32 v16, v20, v16
	v_or_b32_e32 v15, v19, v15
	s_andn2_b32 exec_lo, exec_lo, s17
	s_cbranch_execnz .LBB0_22
; %bb.23:                               ;   in Loop: Header=BB0_3 Depth=1
	s_or_b32 exec_lo, exec_lo, s17
.LBB0_24:                               ;   in Loop: Header=BB0_3 Depth=1
	s_or_b32 exec_lo, exec_lo, s13
	v_mov_b32_e32 v20, v18
	v_mov_b32_e32 v19, v17
                                        ; implicit-def: $vgpr21
.LBB0_25:                               ;   in Loop: Header=BB0_3 Depth=1
	s_or_saveexec_b32 s4, s12
	v_mov_b32_e32 v9, 0
	s_xor_b32 exec_lo, exec_lo, s4
	s_cbranch_execz .LBB0_27
; %bb.26:                               ;   in Loop: Header=BB0_3 Depth=1
	global_load_dwordx2 v[15:16], v[17:18], off
	v_add_nc_u32_e32 v9, -8, v21
.LBB0_27:                               ;   in Loop: Header=BB0_3 Depth=1
	s_or_b32 exec_lo, exec_lo, s4
	v_add_co_u32 v21, s4, v19, 8
	v_add_co_ci_u32_e64 v22, null, 0, v20, s4
                                        ; implicit-def: $vgpr17_vgpr18
	s_mov_b32 s4, exec_lo
	v_cmpx_gt_u32_e32 8, v9
	s_xor_b32 s12, exec_lo, s4
	s_cbranch_execz .LBB0_33
; %bb.28:                               ;   in Loop: Header=BB0_3 Depth=1
	v_mov_b32_e32 v17, 0
	v_mov_b32_e32 v18, 0
	s_mov_b32 s13, exec_lo
	v_cmpx_ne_u32_e32 0, v9
	s_cbranch_execz .LBB0_32
; %bb.29:                               ;   in Loop: Header=BB0_3 Depth=1
	v_mov_b32_e32 v17, 0
	v_mov_b32_e32 v18, 0
	s_mov_b64 s[4:5], 0
	s_mov_b32 s17, 0
	s_mov_b64 s[10:11], 0
	.p2align	6
.LBB0_30:                               ;   Parent Loop BB0_3 Depth=1
                                        ; =>  This Inner Loop Header: Depth=2
	v_add_co_u32 v21, vcc_lo, v19, s10
	v_add_co_ci_u32_e64 v22, null, s11, v20, vcc_lo
	s_add_u32 s10, s10, 1
	s_addc_u32 s11, s11, 0
	v_cmp_eq_u32_e32 vcc_lo, s10, v9
	global_load_ubyte v21, v[21:22], off
	v_mov_b32_e32 v22, s15
	s_waitcnt vmcnt(0)
	v_and_b32_e32 v21, 0xffff, v21
	v_lshlrev_b64 v[21:22], s4, v[21:22]
	s_add_u32 s4, s4, 8
	s_addc_u32 s5, s5, 0
	s_or_b32 s17, vcc_lo, s17
	v_or_b32_e32 v18, v22, v18
	v_or_b32_e32 v17, v21, v17
	s_andn2_b32 exec_lo, exec_lo, s17
	s_cbranch_execnz .LBB0_30
; %bb.31:                               ;   in Loop: Header=BB0_3 Depth=1
	s_or_b32 exec_lo, exec_lo, s17
.LBB0_32:                               ;   in Loop: Header=BB0_3 Depth=1
	s_or_b32 exec_lo, exec_lo, s13
	v_mov_b32_e32 v22, v20
	v_mov_b32_e32 v21, v19
                                        ; implicit-def: $vgpr9
.LBB0_33:                               ;   in Loop: Header=BB0_3 Depth=1
	s_or_saveexec_b32 s4, s12
	v_mov_b32_e32 v25, 0
	s_xor_b32 exec_lo, exec_lo, s4
	s_cbranch_execz .LBB0_35
; %bb.34:                               ;   in Loop: Header=BB0_3 Depth=1
	global_load_dwordx2 v[17:18], v[19:20], off
	v_add_nc_u32_e32 v25, -8, v9
.LBB0_35:                               ;   in Loop: Header=BB0_3 Depth=1
	s_or_b32 exec_lo, exec_lo, s4
	v_add_co_u32 v23, s4, v21, 8
	v_add_co_ci_u32_e64 v24, null, 0, v22, s4
	s_mov_b32 s4, exec_lo
	v_cmpx_gt_u32_e32 8, v25
	s_xor_b32 s12, exec_lo, s4
	s_cbranch_execz .LBB0_41
; %bb.36:                               ;   in Loop: Header=BB0_3 Depth=1
	v_mov_b32_e32 v19, 0
	v_mov_b32_e32 v20, 0
	s_mov_b32 s13, exec_lo
	v_cmpx_ne_u32_e32 0, v25
	s_cbranch_execz .LBB0_40
; %bb.37:                               ;   in Loop: Header=BB0_3 Depth=1
	v_mov_b32_e32 v19, 0
	v_mov_b32_e32 v20, 0
	s_mov_b64 s[4:5], 0
	s_mov_b32 s17, 0
	s_mov_b64 s[10:11], 0
	.p2align	6
.LBB0_38:                               ;   Parent Loop BB0_3 Depth=1
                                        ; =>  This Inner Loop Header: Depth=2
	v_add_co_u32 v23, vcc_lo, v21, s10
	v_add_co_ci_u32_e64 v24, null, s11, v22, vcc_lo
	s_add_u32 s10, s10, 1
	s_addc_u32 s11, s11, 0
	v_cmp_eq_u32_e32 vcc_lo, s10, v25
	global_load_ubyte v9, v[23:24], off
	v_mov_b32_e32 v24, s15
	s_waitcnt vmcnt(0)
	v_and_b32_e32 v23, 0xffff, v9
	v_lshlrev_b64 v[23:24], s4, v[23:24]
	s_add_u32 s4, s4, 8
	s_addc_u32 s5, s5, 0
	s_or_b32 s17, vcc_lo, s17
	v_or_b32_e32 v20, v24, v20
	v_or_b32_e32 v19, v23, v19
	s_andn2_b32 exec_lo, exec_lo, s17
	s_cbranch_execnz .LBB0_38
; %bb.39:                               ;   in Loop: Header=BB0_3 Depth=1
	s_or_b32 exec_lo, exec_lo, s17
.LBB0_40:                               ;   in Loop: Header=BB0_3 Depth=1
	s_or_b32 exec_lo, exec_lo, s13
	v_mov_b32_e32 v24, v22
	v_mov_b32_e32 v23, v21
                                        ; implicit-def: $vgpr25
.LBB0_41:                               ;   in Loop: Header=BB0_3 Depth=1
	s_or_saveexec_b32 s4, s12
	v_mov_b32_e32 v9, 0
	s_xor_b32 exec_lo, exec_lo, s4
	s_cbranch_execz .LBB0_43
; %bb.42:                               ;   in Loop: Header=BB0_3 Depth=1
	global_load_dwordx2 v[19:20], v[21:22], off
	v_add_nc_u32_e32 v9, -8, v25
.LBB0_43:                               ;   in Loop: Header=BB0_3 Depth=1
	s_or_b32 exec_lo, exec_lo, s4
	v_add_co_u32 v25, s4, v23, 8
	v_add_co_ci_u32_e64 v26, null, 0, v24, s4
                                        ; implicit-def: $vgpr21_vgpr22
	s_mov_b32 s4, exec_lo
	v_cmpx_gt_u32_e32 8, v9
	s_xor_b32 s12, exec_lo, s4
	s_cbranch_execz .LBB0_49
; %bb.44:                               ;   in Loop: Header=BB0_3 Depth=1
	v_mov_b32_e32 v21, 0
	v_mov_b32_e32 v22, 0
	s_mov_b32 s13, exec_lo
	v_cmpx_ne_u32_e32 0, v9
	s_cbranch_execz .LBB0_48
; %bb.45:                               ;   in Loop: Header=BB0_3 Depth=1
	v_mov_b32_e32 v21, 0
	v_mov_b32_e32 v22, 0
	s_mov_b64 s[4:5], 0
	s_mov_b32 s17, 0
	s_mov_b64 s[10:11], 0
	.p2align	6
.LBB0_46:                               ;   Parent Loop BB0_3 Depth=1
                                        ; =>  This Inner Loop Header: Depth=2
	v_add_co_u32 v25, vcc_lo, v23, s10
	v_add_co_ci_u32_e64 v26, null, s11, v24, vcc_lo
	s_add_u32 s10, s10, 1
	s_addc_u32 s11, s11, 0
	v_cmp_eq_u32_e32 vcc_lo, s10, v9
	global_load_ubyte v25, v[25:26], off
	v_mov_b32_e32 v26, s15
	s_waitcnt vmcnt(0)
	v_and_b32_e32 v25, 0xffff, v25
	v_lshlrev_b64 v[25:26], s4, v[25:26]
	s_add_u32 s4, s4, 8
	s_addc_u32 s5, s5, 0
	s_or_b32 s17, vcc_lo, s17
	v_or_b32_e32 v22, v26, v22
	v_or_b32_e32 v21, v25, v21
	s_andn2_b32 exec_lo, exec_lo, s17
	s_cbranch_execnz .LBB0_46
; %bb.47:                               ;   in Loop: Header=BB0_3 Depth=1
	s_or_b32 exec_lo, exec_lo, s17
.LBB0_48:                               ;   in Loop: Header=BB0_3 Depth=1
	s_or_b32 exec_lo, exec_lo, s13
	v_mov_b32_e32 v26, v24
	v_mov_b32_e32 v25, v23
                                        ; implicit-def: $vgpr9
.LBB0_49:                               ;   in Loop: Header=BB0_3 Depth=1
	s_or_saveexec_b32 s4, s12
	v_mov_b32_e32 v27, 0
	s_xor_b32 exec_lo, exec_lo, s4
	s_cbranch_execz .LBB0_51
; %bb.50:                               ;   in Loop: Header=BB0_3 Depth=1
	global_load_dwordx2 v[21:22], v[23:24], off
	v_add_nc_u32_e32 v27, -8, v9
.LBB0_51:                               ;   in Loop: Header=BB0_3 Depth=1
	s_or_b32 exec_lo, exec_lo, s4
	s_mov_b32 s4, exec_lo
	v_cmpx_gt_u32_e32 8, v27
	s_xor_b32 s10, exec_lo, s4
	s_cbranch_execz .LBB0_57
; %bb.52:                               ;   in Loop: Header=BB0_3 Depth=1
	v_mov_b32_e32 v23, 0
	v_mov_b32_e32 v24, 0
	s_mov_b32 s11, exec_lo
	v_cmpx_ne_u32_e32 0, v27
	s_cbranch_execz .LBB0_56
; %bb.53:                               ;   in Loop: Header=BB0_3 Depth=1
	v_mov_b32_e32 v23, 0
	v_mov_b32_e32 v24, 0
	s_mov_b64 s[4:5], 0
	s_mov_b32 s12, 0
	.p2align	6
.LBB0_54:                               ;   Parent Loop BB0_3 Depth=1
                                        ; =>  This Inner Loop Header: Depth=2
	global_load_ubyte v9, v[25:26], off
	v_mov_b32_e32 v32, s15
	v_add_nc_u32_e32 v27, -1, v27
	v_add_co_u32 v25, vcc_lo, v25, 1
	v_add_co_ci_u32_e64 v26, null, 0, v26, vcc_lo
	v_cmp_eq_u32_e32 vcc_lo, 0, v27
	s_waitcnt vmcnt(0)
	v_and_b32_e32 v31, 0xffff, v9
	v_lshlrev_b64 v[31:32], s4, v[31:32]
	s_add_u32 s4, s4, 8
	s_addc_u32 s5, s5, 0
	s_or_b32 s12, vcc_lo, s12
	v_or_b32_e32 v24, v32, v24
	v_or_b32_e32 v23, v31, v23
	s_andn2_b32 exec_lo, exec_lo, s12
	s_cbranch_execnz .LBB0_54
; %bb.55:                               ;   in Loop: Header=BB0_3 Depth=1
	s_or_b32 exec_lo, exec_lo, s12
.LBB0_56:                               ;   in Loop: Header=BB0_3 Depth=1
	s_or_b32 exec_lo, exec_lo, s11
                                        ; implicit-def: $vgpr25_vgpr26
.LBB0_57:                               ;   in Loop: Header=BB0_3 Depth=1
	s_andn2_saveexec_b32 s4, s10
	s_cbranch_execz .LBB0_59
; %bb.58:                               ;   in Loop: Header=BB0_3 Depth=1
	global_load_dwordx2 v[23:24], v[25:26], off
.LBB0_59:                               ;   in Loop: Header=BB0_3 Depth=1
	s_or_b32 exec_lo, exec_lo, s4
	v_readfirstlane_b32 s4, v33
	v_mov_b32_e32 v31, 0
	v_mov_b32_e32 v32, 0
	v_cmp_eq_u32_e64 s4, s4, v33
	s_and_saveexec_b32 s5, s4
	s_cbranch_execz .LBB0_65
; %bb.60:                               ;   in Loop: Header=BB0_3 Depth=1
	s_waitcnt lgkmcnt(0)
	global_load_dwordx2 v[27:28], v10, s[6:7] offset:24 glc dlc
	s_waitcnt vmcnt(0)
	buffer_gl1_inv
	buffer_gl0_inv
	s_clause 0x1
	global_load_dwordx2 v[25:26], v10, s[6:7] offset:40
	global_load_dwordx2 v[31:32], v10, s[6:7]
	s_mov_b32 s10, exec_lo
	s_waitcnt vmcnt(1)
	v_and_b32_e32 v9, v26, v28
	v_and_b32_e32 v25, v25, v27
	v_mul_lo_u32 v9, v9, 24
	v_mul_hi_u32 v26, v25, 24
	v_mul_lo_u32 v25, v25, 24
	v_add_nc_u32_e32 v9, v26, v9
	s_waitcnt vmcnt(0)
	v_add_co_u32 v25, vcc_lo, v31, v25
	v_add_co_ci_u32_e64 v26, null, v32, v9, vcc_lo
	global_load_dwordx2 v[25:26], v[25:26], off glc dlc
	s_waitcnt vmcnt(0)
	global_atomic_cmpswap_x2 v[31:32], v10, v[25:28], s[6:7] offset:24 glc
	s_waitcnt vmcnt(0)
	buffer_gl1_inv
	buffer_gl0_inv
	v_cmpx_ne_u64_e64 v[31:32], v[27:28]
	s_cbranch_execz .LBB0_64
; %bb.61:                               ;   in Loop: Header=BB0_3 Depth=1
	s_mov_b32 s11, 0
	.p2align	6
.LBB0_62:                               ;   Parent Loop BB0_3 Depth=1
                                        ; =>  This Inner Loop Header: Depth=2
	s_sleep 1
	s_clause 0x1
	global_load_dwordx2 v[25:26], v10, s[6:7] offset:40
	global_load_dwordx2 v[34:35], v10, s[6:7]
	v_mov_b32_e32 v27, v31
	v_mov_b32_e32 v28, v32
	s_waitcnt vmcnt(1)
	v_and_b32_e32 v9, v25, v27
	v_and_b32_e32 v25, v26, v28
	s_waitcnt vmcnt(0)
	v_mad_u64_u32 v[31:32], null, v9, 24, v[34:35]
	v_mov_b32_e32 v9, v32
	v_mad_u64_u32 v[25:26], null, v25, 24, v[9:10]
	v_mov_b32_e32 v32, v25
	global_load_dwordx2 v[25:26], v[31:32], off glc dlc
	s_waitcnt vmcnt(0)
	global_atomic_cmpswap_x2 v[31:32], v10, v[25:28], s[6:7] offset:24 glc
	s_waitcnt vmcnt(0)
	buffer_gl1_inv
	buffer_gl0_inv
	v_cmp_eq_u64_e32 vcc_lo, v[31:32], v[27:28]
	s_or_b32 s11, vcc_lo, s11
	s_andn2_b32 exec_lo, exec_lo, s11
	s_cbranch_execnz .LBB0_62
; %bb.63:                               ;   in Loop: Header=BB0_3 Depth=1
	s_or_b32 exec_lo, exec_lo, s11
.LBB0_64:                               ;   in Loop: Header=BB0_3 Depth=1
	s_or_b32 exec_lo, exec_lo, s10
.LBB0_65:                               ;   in Loop: Header=BB0_3 Depth=1
	s_or_b32 exec_lo, exec_lo, s5
	s_waitcnt lgkmcnt(0)
	s_clause 0x1
	global_load_dwordx2 v[34:35], v10, s[6:7] offset:40
	global_load_dwordx4 v[25:28], v10, s[6:7]
	v_readfirstlane_b32 s11, v32
	v_readfirstlane_b32 s10, v31
	s_mov_b32 s5, exec_lo
	s_waitcnt vmcnt(1)
	v_readfirstlane_b32 s12, v34
	v_readfirstlane_b32 s13, v35
	s_and_b64 s[12:13], s[12:13], s[10:11]
	s_mul_i32 s17, s13, 24
	s_mul_hi_u32 s18, s12, 24
	s_mul_i32 s19, s12, 24
	s_add_i32 s18, s18, s17
	s_waitcnt vmcnt(0)
	v_add_co_u32 v31, vcc_lo, v25, s19
	v_add_co_ci_u32_e64 v32, null, s18, v26, vcc_lo
	s_and_saveexec_b32 s17, s4
	s_cbranch_execz .LBB0_67
; %bb.66:                               ;   in Loop: Header=BB0_3 Depth=1
	v_mov_b32_e32 v9, s5
	global_store_dwordx4 v[31:32], v[9:12], off offset:8
.LBB0_67:                               ;   in Loop: Header=BB0_3 Depth=1
	s_or_b32 exec_lo, exec_lo, s17
	v_cmp_gt_u64_e32 vcc_lo, 57, v[4:5]
	s_lshl_b64 s[12:13], s[12:13], 12
	v_and_b32_e32 v0, 0xffffff1f, v0
	v_lshl_add_u32 v35, v29, 2, 28
	v_lshlrev_b32_e32 v34, 6, v33
	v_cndmask_b32_e32 v9, 0, v6, vcc_lo
	v_add_co_u32 v27, vcc_lo, v27, s12
	v_add_co_ci_u32_e64 v28, null, s13, v28, vcc_lo
	v_or_b32_e32 v0, v0, v9
	v_readfirstlane_b32 s12, v27
	v_readfirstlane_b32 s13, v28
	v_and_or_b32 v0, 0x1e0, v35, v0
	global_store_dwordx4 v34, v[13:16], s[12:13] offset:16
	global_store_dwordx4 v34, v[0:3], s[12:13]
	global_store_dwordx4 v34, v[17:20], s[12:13] offset:32
	global_store_dwordx4 v34, v[21:24], s[12:13] offset:48
	s_and_saveexec_b32 s5, s4
	s_cbranch_execz .LBB0_75
; %bb.68:                               ;   in Loop: Header=BB0_3 Depth=1
	s_clause 0x1
	global_load_dwordx2 v[17:18], v10, s[6:7] offset:32 glc dlc
	global_load_dwordx2 v[0:1], v10, s[6:7] offset:40
	v_mov_b32_e32 v15, s10
	v_mov_b32_e32 v16, s11
	s_waitcnt vmcnt(0)
	v_readfirstlane_b32 s12, v0
	v_readfirstlane_b32 s13, v1
	s_and_b64 s[12:13], s[12:13], s[10:11]
	s_mul_i32 s13, s13, 24
	s_mul_hi_u32 s17, s12, 24
	s_mul_i32 s12, s12, 24
	s_add_i32 s17, s17, s13
	v_add_co_u32 v13, vcc_lo, v25, s12
	v_add_co_ci_u32_e64 v14, null, s17, v26, vcc_lo
	s_mov_b32 s12, exec_lo
	global_store_dwordx2 v[13:14], v[17:18], off
	s_waitcnt_vscnt null, 0x0
	global_atomic_cmpswap_x2 v[2:3], v10, v[15:18], s[6:7] offset:32 glc
	s_waitcnt vmcnt(0)
	v_cmpx_ne_u64_e64 v[2:3], v[17:18]
	s_cbranch_execz .LBB0_71
; %bb.69:                               ;   in Loop: Header=BB0_3 Depth=1
	s_mov_b32 s13, 0
.LBB0_70:                               ;   Parent Loop BB0_3 Depth=1
                                        ; =>  This Inner Loop Header: Depth=2
	v_mov_b32_e32 v0, s10
	v_mov_b32_e32 v1, s11
	s_sleep 1
	global_store_dwordx2 v[13:14], v[2:3], off
	s_waitcnt_vscnt null, 0x0
	global_atomic_cmpswap_x2 v[0:1], v10, v[0:3], s[6:7] offset:32 glc
	s_waitcnt vmcnt(0)
	v_cmp_eq_u64_e32 vcc_lo, v[0:1], v[2:3]
	v_mov_b32_e32 v3, v1
	v_mov_b32_e32 v2, v0
	s_or_b32 s13, vcc_lo, s13
	s_andn2_b32 exec_lo, exec_lo, s13
	s_cbranch_execnz .LBB0_70
.LBB0_71:                               ;   in Loop: Header=BB0_3 Depth=1
	s_or_b32 exec_lo, exec_lo, s12
	global_load_dwordx2 v[0:1], v10, s[6:7] offset:16
	s_mov_b32 s13, exec_lo
	s_mov_b32 s12, exec_lo
	v_mbcnt_lo_u32_b32 v2, s13, 0
	v_cmpx_eq_u32_e32 0, v2
	s_cbranch_execz .LBB0_73
; %bb.72:                               ;   in Loop: Header=BB0_3 Depth=1
	s_bcnt1_i32_b32 s13, s13
	v_mov_b32_e32 v9, s13
	s_waitcnt vmcnt(0)
	global_atomic_add_x2 v[0:1], v[9:10], off offset:8
.LBB0_73:                               ;   in Loop: Header=BB0_3 Depth=1
	s_or_b32 exec_lo, exec_lo, s12
	s_waitcnt vmcnt(0)
	global_load_dwordx2 v[2:3], v[0:1], off offset:16
	s_waitcnt vmcnt(0)
	v_cmp_eq_u64_e32 vcc_lo, 0, v[2:3]
	s_cbranch_vccnz .LBB0_75
; %bb.74:                               ;   in Loop: Header=BB0_3 Depth=1
	global_load_dword v9, v[0:1], off offset:24
	s_waitcnt vmcnt(0)
	v_readfirstlane_b32 s12, v9
	s_waitcnt_vscnt null, 0x0
	global_store_dwordx2 v[2:3], v[9:10], off
	s_and_b32 m0, s12, 0x7fffff
	s_sendmsg sendmsg(MSG_INTERRUPT)
.LBB0_75:                               ;   in Loop: Header=BB0_3 Depth=1
	s_or_b32 exec_lo, exec_lo, s5
	v_add_co_u32 v0, vcc_lo, v27, v34
	v_add_co_ci_u32_e64 v1, null, 0, v28, vcc_lo
	s_branch .LBB0_79
	.p2align	6
.LBB0_76:                               ;   in Loop: Header=BB0_79 Depth=2
	s_or_b32 exec_lo, exec_lo, s5
	v_readfirstlane_b32 s5, v2
	s_cmp_eq_u32 s5, 0
	s_cbranch_scc1 .LBB0_78
; %bb.77:                               ;   in Loop: Header=BB0_79 Depth=2
	s_sleep 1
	s_cbranch_execnz .LBB0_79
	s_branch .LBB0_81
	.p2align	6
.LBB0_78:                               ;   in Loop: Header=BB0_3 Depth=1
	s_branch .LBB0_81
.LBB0_79:                               ;   Parent Loop BB0_3 Depth=1
                                        ; =>  This Inner Loop Header: Depth=2
	v_mov_b32_e32 v2, 1
	s_and_saveexec_b32 s5, s4
	s_cbranch_execz .LBB0_76
; %bb.80:                               ;   in Loop: Header=BB0_79 Depth=2
	global_load_dword v2, v[31:32], off offset:20 glc dlc
	s_waitcnt vmcnt(0)
	buffer_gl1_inv
	buffer_gl0_inv
	v_and_b32_e32 v2, 1, v2
	s_branch .LBB0_76
.LBB0_81:                               ;   in Loop: Header=BB0_3 Depth=1
	global_load_dwordx4 v[0:3], v[0:1], off
	s_and_saveexec_b32 s12, s4
	s_cbranch_execz .LBB0_2
; %bb.82:                               ;   in Loop: Header=BB0_3 Depth=1
	s_clause 0x2
	global_load_dwordx2 v[2:3], v10, s[6:7] offset:40
	global_load_dwordx2 v[17:18], v10, s[6:7] offset:24 glc dlc
	global_load_dwordx2 v[13:14], v10, s[6:7]
	s_waitcnt vmcnt(2)
	v_readfirstlane_b32 s18, v2
	v_readfirstlane_b32 s19, v3
	s_add_u32 s13, s18, 1
	s_addc_u32 s17, s19, 0
	s_add_u32 s4, s13, s10
	s_addc_u32 s5, s17, s11
	s_cmp_eq_u64 s[4:5], 0
	s_cselect_b32 s5, s17, s5
	s_cselect_b32 s4, s13, s4
	v_mov_b32_e32 v16, s5
	s_and_b64 s[10:11], s[4:5], s[18:19]
	v_mov_b32_e32 v15, s4
	s_mul_i32 s11, s11, 24
	s_mul_hi_u32 s13, s10, 24
	s_mul_i32 s10, s10, 24
	s_add_i32 s13, s13, s11
	s_waitcnt vmcnt(0)
	v_add_co_u32 v2, vcc_lo, v13, s10
	v_add_co_ci_u32_e64 v3, null, s13, v14, vcc_lo
	global_store_dwordx2 v[2:3], v[17:18], off
	s_waitcnt_vscnt null, 0x0
	global_atomic_cmpswap_x2 v[15:16], v10, v[15:18], s[6:7] offset:24 glc
	s_waitcnt vmcnt(0)
	v_cmp_ne_u64_e32 vcc_lo, v[15:16], v[17:18]
	s_and_b32 exec_lo, exec_lo, vcc_lo
	s_cbranch_execz .LBB0_2
; %bb.83:                               ;   in Loop: Header=BB0_3 Depth=1
	s_mov_b32 s10, 0
.LBB0_84:                               ;   Parent Loop BB0_3 Depth=1
                                        ; =>  This Inner Loop Header: Depth=2
	v_mov_b32_e32 v13, s4
	v_mov_b32_e32 v14, s5
	s_sleep 1
	global_store_dwordx2 v[2:3], v[15:16], off
	s_waitcnt_vscnt null, 0x0
	global_atomic_cmpswap_x2 v[13:14], v10, v[13:16], s[6:7] offset:24 glc
	s_waitcnt vmcnt(0)
	v_cmp_eq_u64_e32 vcc_lo, v[13:14], v[15:16]
	v_mov_b32_e32 v16, v14
	v_mov_b32_e32 v15, v13
	s_or_b32 s10, vcc_lo, s10
	s_andn2_b32 exec_lo, exec_lo, s10
	s_cbranch_execnz .LBB0_84
	s_branch .LBB0_2
.LBB0_85:
	s_or_b32 exec_lo, exec_lo, s16
                                        ; implicit-def: $vgpr0
                                        ; implicit-def: $vgpr33
                                        ; implicit-def: $vgpr1
.LBB0_86:
	s_andn2_saveexec_b32 s12, s14
	s_cbranch_execz .LBB0_109
; %bb.87:
	s_load_dwordx2 s[6:7], s[8:9], 0x50
	v_readfirstlane_b32 s4, v33
	v_mov_b32_e32 v8, 0
	v_mov_b32_e32 v9, 0
	v_cmp_eq_u32_e64 s4, s4, v33
	s_and_saveexec_b32 s5, s4
	s_cbranch_execz .LBB0_93
; %bb.88:
	s_waitcnt vmcnt(0)
	v_mov_b32_e32 v2, 0
	s_mov_b32 s8, exec_lo
	s_waitcnt lgkmcnt(0)
	global_load_dwordx2 v[5:6], v2, s[6:7] offset:24 glc dlc
	s_waitcnt vmcnt(0)
	buffer_gl1_inv
	buffer_gl0_inv
	s_clause 0x1
	global_load_dwordx2 v[3:4], v2, s[6:7] offset:40
	global_load_dwordx2 v[7:8], v2, s[6:7]
	s_waitcnt vmcnt(1)
	v_and_b32_e32 v4, v4, v6
	v_and_b32_e32 v3, v3, v5
	v_mul_lo_u32 v4, v4, 24
	v_mul_hi_u32 v9, v3, 24
	v_mul_lo_u32 v3, v3, 24
	v_add_nc_u32_e32 v4, v9, v4
	s_waitcnt vmcnt(0)
	v_add_co_u32 v3, vcc_lo, v7, v3
	v_add_co_ci_u32_e64 v4, null, v8, v4, vcc_lo
	global_load_dwordx2 v[3:4], v[3:4], off glc dlc
	s_waitcnt vmcnt(0)
	global_atomic_cmpswap_x2 v[8:9], v2, v[3:6], s[6:7] offset:24 glc
	s_waitcnt vmcnt(0)
	buffer_gl1_inv
	buffer_gl0_inv
	v_cmpx_ne_u64_e64 v[8:9], v[5:6]
	s_cbranch_execz .LBB0_92
; %bb.89:
	s_mov_b32 s9, 0
	.p2align	6
.LBB0_90:                               ; =>This Inner Loop Header: Depth=1
	s_sleep 1
	s_clause 0x1
	global_load_dwordx2 v[3:4], v2, s[6:7] offset:40
	global_load_dwordx2 v[10:11], v2, s[6:7]
	v_mov_b32_e32 v5, v8
	v_mov_b32_e32 v6, v9
	s_waitcnt vmcnt(1)
	v_and_b32_e32 v3, v3, v5
	v_and_b32_e32 v4, v4, v6
	s_waitcnt vmcnt(0)
	v_mad_u64_u32 v[7:8], null, v3, 24, v[10:11]
	v_mov_b32_e32 v3, v8
	v_mad_u64_u32 v[3:4], null, v4, 24, v[3:4]
	v_mov_b32_e32 v8, v3
	global_load_dwordx2 v[3:4], v[7:8], off glc dlc
	s_waitcnt vmcnt(0)
	global_atomic_cmpswap_x2 v[8:9], v2, v[3:6], s[6:7] offset:24 glc
	s_waitcnt vmcnt(0)
	buffer_gl1_inv
	buffer_gl0_inv
	v_cmp_eq_u64_e32 vcc_lo, v[8:9], v[5:6]
	s_or_b32 s9, vcc_lo, s9
	s_andn2_b32 exec_lo, exec_lo, s9
	s_cbranch_execnz .LBB0_90
; %bb.91:
	s_or_b32 exec_lo, exec_lo, s9
.LBB0_92:
	s_or_b32 exec_lo, exec_lo, s8
.LBB0_93:
	s_or_b32 exec_lo, exec_lo, s5
	s_waitcnt vmcnt(0)
	v_mov_b32_e32 v2, 0
	v_readfirstlane_b32 s9, v9
	v_readfirstlane_b32 s8, v8
	s_mov_b32 s5, exec_lo
	s_waitcnt lgkmcnt(0)
	s_clause 0x1
	global_load_dwordx2 v[10:11], v2, s[6:7] offset:40
	global_load_dwordx4 v[4:7], v2, s[6:7]
	s_waitcnt vmcnt(1)
	v_readfirstlane_b32 s10, v10
	v_readfirstlane_b32 s11, v11
	s_and_b64 s[10:11], s[10:11], s[8:9]
	s_mul_i32 s13, s11, 24
	s_mul_hi_u32 s14, s10, 24
	s_mul_i32 s15, s10, 24
	s_add_i32 s14, s14, s13
	s_waitcnt vmcnt(0)
	v_add_co_u32 v8, vcc_lo, v4, s15
	v_add_co_ci_u32_e64 v9, null, s14, v5, vcc_lo
	s_and_saveexec_b32 s13, s4
	s_cbranch_execz .LBB0_95
; %bb.94:
	v_mov_b32_e32 v10, s5
	v_mov_b32_e32 v11, v2
	;; [unrolled: 1-line block ×4, first 2 shown]
	global_store_dwordx4 v[8:9], v[10:13], off offset:8
.LBB0_95:
	s_or_b32 exec_lo, exec_lo, s13
	s_lshl_b64 s[10:11], s[10:11], 12
	s_mov_b32 s16, 0
	v_add_co_u32 v6, vcc_lo, v6, s10
	v_add_co_ci_u32_e64 v7, null, s11, v7, vcc_lo
	s_mov_b32 s17, s16
	s_mov_b32 s18, s16
	;; [unrolled: 1-line block ×3, first 2 shown]
	v_and_or_b32 v0, 0xffffff1f, v0, 32
	v_lshlrev_b32_e32 v14, 6, v33
	v_mov_b32_e32 v3, v2
	v_readfirstlane_b32 s10, v6
	v_readfirstlane_b32 s11, v7
	v_mov_b32_e32 v10, s16
	v_mov_b32_e32 v11, s17
	;; [unrolled: 1-line block ×4, first 2 shown]
	global_store_dwordx4 v14, v[0:3], s[10:11]
	global_store_dwordx4 v14, v[10:13], s[10:11] offset:16
	global_store_dwordx4 v14, v[10:13], s[10:11] offset:32
	;; [unrolled: 1-line block ×3, first 2 shown]
	s_and_saveexec_b32 s5, s4
	s_cbranch_execz .LBB0_103
; %bb.96:
	v_mov_b32_e32 v6, 0
	v_mov_b32_e32 v10, s8
	v_mov_b32_e32 v11, s9
	s_mov_b32 s10, exec_lo
	s_clause 0x1
	global_load_dwordx2 v[12:13], v6, s[6:7] offset:32 glc dlc
	global_load_dwordx2 v[0:1], v6, s[6:7] offset:40
	s_waitcnt vmcnt(0)
	v_and_b32_e32 v1, s9, v1
	v_and_b32_e32 v0, s8, v0
	v_mul_lo_u32 v1, v1, 24
	v_mul_hi_u32 v2, v0, 24
	v_mul_lo_u32 v0, v0, 24
	v_add_nc_u32_e32 v1, v2, v1
	v_add_co_u32 v4, vcc_lo, v4, v0
	v_add_co_ci_u32_e64 v5, null, v5, v1, vcc_lo
	global_store_dwordx2 v[4:5], v[12:13], off
	s_waitcnt_vscnt null, 0x0
	global_atomic_cmpswap_x2 v[2:3], v6, v[10:13], s[6:7] offset:32 glc
	s_waitcnt vmcnt(0)
	v_cmpx_ne_u64_e64 v[2:3], v[12:13]
	s_cbranch_execz .LBB0_99
; %bb.97:
	s_mov_b32 s11, 0
.LBB0_98:                               ; =>This Inner Loop Header: Depth=1
	v_mov_b32_e32 v0, s8
	v_mov_b32_e32 v1, s9
	s_sleep 1
	global_store_dwordx2 v[4:5], v[2:3], off
	s_waitcnt_vscnt null, 0x0
	global_atomic_cmpswap_x2 v[0:1], v6, v[0:3], s[6:7] offset:32 glc
	s_waitcnt vmcnt(0)
	v_cmp_eq_u64_e32 vcc_lo, v[0:1], v[2:3]
	v_mov_b32_e32 v3, v1
	v_mov_b32_e32 v2, v0
	s_or_b32 s11, vcc_lo, s11
	s_andn2_b32 exec_lo, exec_lo, s11
	s_cbranch_execnz .LBB0_98
.LBB0_99:
	s_or_b32 exec_lo, exec_lo, s10
	v_mov_b32_e32 v3, 0
	s_mov_b32 s11, exec_lo
	s_mov_b32 s10, exec_lo
	v_mbcnt_lo_u32_b32 v2, s11, 0
	global_load_dwordx2 v[0:1], v3, s[6:7] offset:16
	v_cmpx_eq_u32_e32 0, v2
	s_cbranch_execz .LBB0_101
; %bb.100:
	s_bcnt1_i32_b32 s11, s11
	v_mov_b32_e32 v2, s11
	s_waitcnt vmcnt(0)
	global_atomic_add_x2 v[0:1], v[2:3], off offset:8
.LBB0_101:
	s_or_b32 exec_lo, exec_lo, s10
	s_waitcnt vmcnt(0)
	global_load_dwordx2 v[2:3], v[0:1], off offset:16
	s_waitcnt vmcnt(0)
	v_cmp_eq_u64_e32 vcc_lo, 0, v[2:3]
	s_cbranch_vccnz .LBB0_103
; %bb.102:
	global_load_dword v0, v[0:1], off offset:24
	v_mov_b32_e32 v1, 0
	s_waitcnt vmcnt(0)
	v_readfirstlane_b32 s10, v0
	s_waitcnt_vscnt null, 0x0
	global_store_dwordx2 v[2:3], v[0:1], off
	s_and_b32 m0, s10, 0x7fffff
	s_sendmsg sendmsg(MSG_INTERRUPT)
.LBB0_103:
	s_or_b32 exec_lo, exec_lo, s5
	s_branch .LBB0_107
	.p2align	6
.LBB0_104:                              ;   in Loop: Header=BB0_107 Depth=1
	s_or_b32 exec_lo, exec_lo, s5
	v_readfirstlane_b32 s5, v0
	s_cmp_eq_u32 s5, 0
	s_cbranch_scc1 .LBB0_106
; %bb.105:                              ;   in Loop: Header=BB0_107 Depth=1
	s_sleep 1
	s_cbranch_execnz .LBB0_107
	s_branch .LBB0_110
	.p2align	6
.LBB0_106:
	s_branch .LBB0_110
.LBB0_107:                              ; =>This Inner Loop Header: Depth=1
	v_mov_b32_e32 v0, 1
	s_and_saveexec_b32 s5, s4
	s_cbranch_execz .LBB0_104
; %bb.108:                              ;   in Loop: Header=BB0_107 Depth=1
	global_load_dword v0, v[8:9], off offset:20 glc dlc
	s_waitcnt vmcnt(0)
	buffer_gl1_inv
	buffer_gl0_inv
	v_and_b32_e32 v0, 1, v0
	s_branch .LBB0_104
.LBB0_109:
	s_or_b32 exec_lo, exec_lo, s12
	s_waitcnt vmcnt(0) lgkmcnt(0)
	s_setpc_b64 s[30:31]
.LBB0_110:
	s_and_saveexec_b32 s10, s4
	s_cbranch_execz .LBB0_114
; %bb.111:
	v_mov_b32_e32 v6, 0
	s_clause 0x2
	global_load_dwordx2 v[0:1], v6, s[6:7] offset:40
	global_load_dwordx2 v[9:10], v6, s[6:7] offset:24 glc dlc
	global_load_dwordx2 v[2:3], v6, s[6:7]
	s_waitcnt vmcnt(2)
	v_readfirstlane_b32 s14, v0
	v_readfirstlane_b32 s15, v1
	s_add_u32 s11, s14, 1
	s_addc_u32 s13, s15, 0
	s_add_u32 s4, s11, s8
	s_addc_u32 s5, s13, s9
	s_cmp_eq_u64 s[4:5], 0
	s_cselect_b32 s5, s13, s5
	s_cselect_b32 s4, s11, s4
	v_mov_b32_e32 v8, s5
	s_and_b64 s[8:9], s[4:5], s[14:15]
	v_mov_b32_e32 v7, s4
	s_mul_i32 s9, s9, 24
	s_mul_hi_u32 s11, s8, 24
	s_mul_i32 s8, s8, 24
	s_add_i32 s11, s11, s9
	s_waitcnt vmcnt(0)
	v_add_co_u32 v4, vcc_lo, v2, s8
	v_add_co_ci_u32_e64 v5, null, s11, v3, vcc_lo
	global_store_dwordx2 v[4:5], v[9:10], off
	s_waitcnt_vscnt null, 0x0
	global_atomic_cmpswap_x2 v[2:3], v6, v[7:10], s[6:7] offset:24 glc
	s_waitcnt vmcnt(0)
	v_cmp_ne_u64_e32 vcc_lo, v[2:3], v[9:10]
	s_and_b32 exec_lo, exec_lo, vcc_lo
	s_cbranch_execz .LBB0_114
; %bb.112:
	s_mov_b32 s8, 0
.LBB0_113:                              ; =>This Inner Loop Header: Depth=1
	v_mov_b32_e32 v0, s4
	v_mov_b32_e32 v1, s5
	s_sleep 1
	global_store_dwordx2 v[4:5], v[2:3], off
	s_waitcnt_vscnt null, 0x0
	global_atomic_cmpswap_x2 v[0:1], v6, v[0:3], s[6:7] offset:24 glc
	s_waitcnt vmcnt(0)
	v_cmp_eq_u64_e32 vcc_lo, v[0:1], v[2:3]
	v_mov_b32_e32 v3, v1
	v_mov_b32_e32 v2, v0
	s_or_b32 s8, vcc_lo, s8
	s_andn2_b32 exec_lo, exec_lo, s8
	s_cbranch_execnz .LBB0_113
.LBB0_114:
	s_or_b32 exec_lo, exec_lo, s10
	s_or_b32 exec_lo, exec_lo, s12
	s_waitcnt lgkmcnt(0)
	s_setpc_b64 s[30:31]
.Lfunc_end0:
	.size	__ockl_fprintf_append_string_n, .Lfunc_end0-__ockl_fprintf_append_string_n
                                        ; -- End function
	.set .L__ockl_fprintf_append_string_n.num_vgpr, 36
	.set .L__ockl_fprintf_append_string_n.num_agpr, 0
	.set .L__ockl_fprintf_append_string_n.numbered_sgpr, 32
	.set .L__ockl_fprintf_append_string_n.num_named_barrier, 0
	.set .L__ockl_fprintf_append_string_n.private_seg_size, 0
	.set .L__ockl_fprintf_append_string_n.uses_vcc, 1
	.set .L__ockl_fprintf_append_string_n.uses_flat_scratch, 0
	.set .L__ockl_fprintf_append_string_n.has_dyn_sized_stack, 0
	.set .L__ockl_fprintf_append_string_n.has_recursion, 0
	.set .L__ockl_fprintf_append_string_n.has_indirect_call, 0
	.section	.AMDGPU.csdata,"",@progbits
; Function info:
; codeLenInByte = 4532
; TotalNumSgprs: 34
; NumVgprs: 36
; ScratchSize: 0
; MemoryBound: 0
	.text
	.p2align	2                               ; -- Begin function __assert_fail
	.type	__assert_fail,@function
__assert_fail:                          ; @__assert_fail
; %bb.0:
	s_waitcnt vmcnt(0) expcnt(0) lgkmcnt(0)
	s_mov_b32 s20, s33
	s_mov_b32 s33, s32
	s_or_saveexec_b32 s4, -1
	buffer_store_dword v40, off, s[0:3], s33 offset:48 ; 4-byte Folded Spill
	s_mov_b32 exec_lo, s4
	v_writelane_b32 v40, s30, 0
	s_addk_i32 s32, 0x800
	v_writelane_b32 v40, s31, 1
	v_mov_b32_e32 v9, 0
	s_getpc_b64 s[4:5]
	s_add_u32 s4, s4, __const.__assert_fail.fmt@rel32@lo+35
	s_addc_u32 s5, s5, __const.__assert_fail.fmt@rel32@hi+43
	v_mbcnt_lo_u32_b32 v37, -1, 0
	v_mov_b32_e32 v8, v1
	v_mov_b32_e32 v7, v0
	global_load_dwordx4 v[10:13], v9, s[4:5]
	s_getpc_b64 s[4:5]
	s_add_u32 s4, s4, __const.__assert_fail.fmt@rel32@lo+4
	s_addc_u32 s5, s5, __const.__assert_fail.fmt@rel32@hi+12
	s_getpc_b64 s[6:7]
	s_add_u32 s6, s6, __const.__assert_fail.fmt@rel32@lo+20
	s_addc_u32 s7, s7, __const.__assert_fail.fmt@rel32@hi+28
	s_clause 0x1
	s_load_dwordx4 s[12:15], s[4:5], 0x0
	s_load_dwordx4 s[16:19], s[6:7], 0x0
	s_load_dwordx2 s[6:7], s[8:9], 0x50
	v_readfirstlane_b32 s4, v37
	v_mov_b32_e32 v0, 0
	v_mov_b32_e32 v1, 0
	v_cmp_eq_u32_e64 s4, s4, v37
	s_waitcnt lgkmcnt(0)
	v_mov_b32_e32 v14, s15
	v_mov_b32_e32 v15, s14
	;; [unrolled: 1-line block ×8, first 2 shown]
	buffer_store_dword v14, off, s[0:3], s33 offset:12
	buffer_store_dword v15, off, s[0:3], s33 offset:8
	;; [unrolled: 1-line block ×3, first 2 shown]
	buffer_store_dword v17, off, s[0:3], s33
	buffer_store_dword v18, off, s[0:3], s33 offset:28
	buffer_store_dword v19, off, s[0:3], s33 offset:24
	;; [unrolled: 1-line block ×4, first 2 shown]
	s_waitcnt vmcnt(0)
	buffer_store_dword v13, off, s[0:3], s33 offset:43
	buffer_store_dword v12, off, s[0:3], s33 offset:39
	;; [unrolled: 1-line block ×4, first 2 shown]
	s_and_saveexec_b32 s5, s4
	s_cbranch_execz .LBB1_6
; %bb.1:
	global_load_dwordx2 v[12:13], v9, s[6:7] offset:24 glc dlc
	s_waitcnt vmcnt(0)
	buffer_gl1_inv
	buffer_gl0_inv
	s_clause 0x1
	global_load_dwordx2 v[0:1], v9, s[6:7] offset:40
	global_load_dwordx2 v[10:11], v9, s[6:7]
	s_mov_b32 s10, exec_lo
	s_waitcnt vmcnt(1)
	v_and_b32_e32 v1, v1, v13
	v_and_b32_e32 v0, v0, v12
	v_mul_lo_u32 v1, v1, 24
	v_mul_hi_u32 v14, v0, 24
	v_mul_lo_u32 v0, v0, 24
	v_add_nc_u32_e32 v1, v14, v1
	s_waitcnt vmcnt(0)
	v_add_co_u32 v0, vcc_lo, v10, v0
	v_add_co_ci_u32_e64 v1, null, v11, v1, vcc_lo
	global_load_dwordx2 v[10:11], v[0:1], off glc dlc
	s_waitcnt vmcnt(0)
	global_atomic_cmpswap_x2 v[0:1], v9, v[10:13], s[6:7] offset:24 glc
	s_waitcnt vmcnt(0)
	buffer_gl1_inv
	buffer_gl0_inv
	v_cmpx_ne_u64_e64 v[0:1], v[12:13]
	s_cbranch_execz .LBB1_5
; %bb.2:
	v_mov_b32_e32 v10, 0
	s_mov_b32 s11, 0
	.p2align	6
.LBB1_3:                                ; =>This Inner Loop Header: Depth=1
	s_sleep 1
	s_clause 0x1
	global_load_dwordx2 v[11:12], v10, s[6:7] offset:40
	global_load_dwordx2 v[15:16], v10, s[6:7]
	v_mov_b32_e32 v14, v1
	v_mov_b32_e32 v13, v0
	s_waitcnt vmcnt(1)
	v_and_b32_e32 v0, v11, v13
	v_and_b32_e32 v11, v12, v14
	s_waitcnt vmcnt(0)
	v_mad_u64_u32 v[0:1], null, v0, 24, v[15:16]
	v_mad_u64_u32 v[11:12], null, v11, 24, v[1:2]
	v_mov_b32_e32 v1, v11
	global_load_dwordx2 v[11:12], v[0:1], off glc dlc
	s_waitcnt vmcnt(0)
	global_atomic_cmpswap_x2 v[0:1], v10, v[11:14], s[6:7] offset:24 glc
	s_waitcnt vmcnt(0)
	buffer_gl1_inv
	buffer_gl0_inv
	v_cmp_eq_u64_e32 vcc_lo, v[0:1], v[13:14]
	s_or_b32 s11, vcc_lo, s11
	s_andn2_b32 exec_lo, exec_lo, s11
	s_cbranch_execnz .LBB1_3
; %bb.4:
	s_or_b32 exec_lo, exec_lo, s11
.LBB1_5:
	s_or_b32 exec_lo, exec_lo, s10
.LBB1_6:
	s_or_b32 exec_lo, exec_lo, s5
	s_clause 0x1
	global_load_dwordx2 v[13:14], v9, s[6:7] offset:40
	global_load_dwordx4 v[9:12], v9, s[6:7]
	v_readfirstlane_b32 s11, v1
	v_readfirstlane_b32 s10, v0
	s_mov_b32 s5, exec_lo
	s_waitcnt vmcnt(1)
	v_readfirstlane_b32 s12, v13
	v_readfirstlane_b32 s13, v14
	s_and_b64 s[12:13], s[12:13], s[10:11]
	s_mul_i32 s14, s13, 24
	s_mul_hi_u32 s15, s12, 24
	s_mul_i32 s16, s12, 24
	s_add_i32 s15, s15, s14
	s_waitcnt vmcnt(0)
	v_add_co_u32 v0, vcc_lo, v9, s16
	v_add_co_ci_u32_e64 v1, null, s15, v10, vcc_lo
	s_and_saveexec_b32 s14, s4
	s_cbranch_execz .LBB1_8
; %bb.7:
	v_mov_b32_e32 v13, s5
	v_mov_b32_e32 v14, 0
	;; [unrolled: 1-line block ×4, first 2 shown]
	global_store_dwordx4 v[0:1], v[13:16], off offset:8
.LBB1_8:
	s_or_b32 exec_lo, exec_lo, s14
	s_lshl_b64 s[12:13], s[12:13], 12
	v_lshlrev_b32_e32 v38, 6, v37
	v_add_co_u32 v15, vcc_lo, v11, s12
	v_add_co_ci_u32_e64 v16, null, s13, v12, vcc_lo
	v_mov_b32_e32 v12, 0
	s_mov_b32 s12, 0
	v_readfirstlane_b32 s16, v15
	s_mov_b32 s15, s12
	v_add_co_u32 v15, vcc_lo, v15, v38
	s_mov_b32 s13, s12
	s_mov_b32 s14, s12
	v_mov_b32_e32 v11, 33
	v_mov_b32_e32 v13, 1
	;; [unrolled: 1-line block ×3, first 2 shown]
	v_readfirstlane_b32 s17, v16
	v_mov_b32_e32 v20, s15
	v_add_co_ci_u32_e64 v16, null, 0, v16, vcc_lo
	v_mov_b32_e32 v19, s14
	v_mov_b32_e32 v18, s13
	;; [unrolled: 1-line block ×3, first 2 shown]
	global_store_dwordx4 v38, v[11:14], s[16:17]
	global_store_dwordx4 v38, v[17:20], s[16:17] offset:16
	global_store_dwordx4 v38, v[17:20], s[16:17] offset:32
	;; [unrolled: 1-line block ×3, first 2 shown]
	s_and_saveexec_b32 s5, s4
	s_cbranch_execz .LBB1_16
; %bb.9:
	s_clause 0x1
	global_load_dwordx2 v[19:20], v12, s[6:7] offset:32 glc dlc
	global_load_dwordx2 v[13:14], v12, s[6:7] offset:40
	v_mov_b32_e32 v17, s10
	v_mov_b32_e32 v18, s11
	s_mov_b32 s12, exec_lo
	s_waitcnt vmcnt(0)
	v_and_b32_e32 v11, s11, v14
	v_and_b32_e32 v13, s10, v13
	v_mul_lo_u32 v11, v11, 24
	v_mul_hi_u32 v14, v13, 24
	v_mul_lo_u32 v13, v13, 24
	v_add_nc_u32_e32 v11, v14, v11
	v_add_co_u32 v13, vcc_lo, v9, v13
	v_add_co_ci_u32_e64 v14, null, v10, v11, vcc_lo
	global_store_dwordx2 v[13:14], v[19:20], off
	s_waitcnt_vscnt null, 0x0
	global_atomic_cmpswap_x2 v[11:12], v12, v[17:20], s[6:7] offset:32 glc
	s_waitcnt vmcnt(0)
	v_cmpx_ne_u64_e64 v[11:12], v[19:20]
	s_cbranch_execz .LBB1_12
; %bb.10:
	v_mov_b32_e32 v17, 0
	s_mov_b32 s13, 0
.LBB1_11:                               ; =>This Inner Loop Header: Depth=1
	v_mov_b32_e32 v9, s10
	v_mov_b32_e32 v10, s11
	s_sleep 1
	global_store_dwordx2 v[13:14], v[11:12], off
	s_waitcnt_vscnt null, 0x0
	global_atomic_cmpswap_x2 v[9:10], v17, v[9:12], s[6:7] offset:32 glc
	s_waitcnt vmcnt(0)
	v_cmp_eq_u64_e32 vcc_lo, v[9:10], v[11:12]
	v_mov_b32_e32 v12, v10
	v_mov_b32_e32 v11, v9
	s_or_b32 s13, vcc_lo, s13
	s_andn2_b32 exec_lo, exec_lo, s13
	s_cbranch_execnz .LBB1_11
.LBB1_12:
	s_or_b32 exec_lo, exec_lo, s12
	v_mov_b32_e32 v12, 0
	s_mov_b32 s13, exec_lo
	s_mov_b32 s12, exec_lo
	v_mbcnt_lo_u32_b32 v11, s13, 0
	global_load_dwordx2 v[9:10], v12, s[6:7] offset:16
	v_cmpx_eq_u32_e32 0, v11
	s_cbranch_execz .LBB1_14
; %bb.13:
	s_bcnt1_i32_b32 s13, s13
	v_mov_b32_e32 v11, s13
	s_waitcnt vmcnt(0)
	global_atomic_add_x2 v[9:10], v[11:12], off offset:8
.LBB1_14:
	s_or_b32 exec_lo, exec_lo, s12
	s_waitcnt vmcnt(0)
	global_load_dwordx2 v[11:12], v[9:10], off offset:16
	s_waitcnt vmcnt(0)
	v_cmp_eq_u64_e32 vcc_lo, 0, v[11:12]
	s_cbranch_vccnz .LBB1_16
; %bb.15:
	global_load_dword v9, v[9:10], off offset:24
	v_mov_b32_e32 v10, 0
	s_waitcnt vmcnt(0)
	v_readfirstlane_b32 s12, v9
	s_waitcnt_vscnt null, 0x0
	global_store_dwordx2 v[11:12], v[9:10], off
	s_and_b32 m0, s12, 0x7fffff
	s_sendmsg sendmsg(MSG_INTERRUPT)
.LBB1_16:
	s_or_b32 exec_lo, exec_lo, s5
	s_branch .LBB1_20
	.p2align	6
.LBB1_17:                               ;   in Loop: Header=BB1_20 Depth=1
	s_or_b32 exec_lo, exec_lo, s5
	v_readfirstlane_b32 s5, v9
	s_cmp_eq_u32 s5, 0
	s_cbranch_scc1 .LBB1_19
; %bb.18:                               ;   in Loop: Header=BB1_20 Depth=1
	s_sleep 1
	s_cbranch_execnz .LBB1_20
	s_branch .LBB1_22
	.p2align	6
.LBB1_19:
	s_branch .LBB1_22
.LBB1_20:                               ; =>This Inner Loop Header: Depth=1
	v_mov_b32_e32 v9, 1
	s_and_saveexec_b32 s5, s4
	s_cbranch_execz .LBB1_17
; %bb.21:                               ;   in Loop: Header=BB1_20 Depth=1
	global_load_dword v9, v[0:1], off offset:20 glc dlc
	s_waitcnt vmcnt(0)
	buffer_gl1_inv
	buffer_gl0_inv
	v_and_b32_e32 v9, 1, v9
	s_branch .LBB1_17
.LBB1_22:
	global_load_dwordx2 v[13:14], v[15:16], off
	s_and_saveexec_b32 s12, s4
	s_cbranch_execz .LBB1_26
; %bb.23:
	v_mov_b32_e32 v15, 0
	s_clause 0x2
	global_load_dwordx2 v[0:1], v15, s[6:7] offset:40
	global_load_dwordx2 v[18:19], v15, s[6:7] offset:24 glc dlc
	global_load_dwordx2 v[9:10], v15, s[6:7]
	s_waitcnt vmcnt(2)
	v_readfirstlane_b32 s14, v0
	v_readfirstlane_b32 s15, v1
	s_add_u32 s13, s14, 1
	s_addc_u32 s16, s15, 0
	s_add_u32 s4, s13, s10
	s_addc_u32 s5, s16, s11
	s_cmp_eq_u64 s[4:5], 0
	s_cselect_b32 s5, s16, s5
	s_cselect_b32 s4, s13, s4
	v_mov_b32_e32 v17, s5
	s_and_b64 s[10:11], s[4:5], s[14:15]
	v_mov_b32_e32 v16, s4
	s_mul_i32 s11, s11, 24
	s_mul_hi_u32 s13, s10, 24
	s_mul_i32 s10, s10, 24
	s_add_i32 s13, s13, s11
	s_waitcnt vmcnt(0)
	v_add_co_u32 v0, vcc_lo, v9, s10
	v_add_co_ci_u32_e64 v1, null, s13, v10, vcc_lo
	global_store_dwordx2 v[0:1], v[18:19], off
	s_waitcnt_vscnt null, 0x0
	global_atomic_cmpswap_x2 v[11:12], v15, v[16:19], s[6:7] offset:24 glc
	s_waitcnt vmcnt(0)
	v_cmp_ne_u64_e32 vcc_lo, v[11:12], v[18:19]
	s_and_b32 exec_lo, exec_lo, vcc_lo
	s_cbranch_execz .LBB1_26
; %bb.24:
	s_mov_b32 s10, 0
.LBB1_25:                               ; =>This Inner Loop Header: Depth=1
	v_mov_b32_e32 v9, s4
	v_mov_b32_e32 v10, s5
	s_sleep 1
	global_store_dwordx2 v[0:1], v[11:12], off
	s_waitcnt_vscnt null, 0x0
	global_atomic_cmpswap_x2 v[9:10], v15, v[9:12], s[6:7] offset:24 glc
	s_waitcnt vmcnt(0)
	v_cmp_eq_u64_e32 vcc_lo, v[9:10], v[11:12]
	v_mov_b32_e32 v12, v10
	v_mov_b32_e32 v11, v9
	s_or_b32 s10, vcc_lo, s10
	s_andn2_b32 exec_lo, exec_lo, s10
	s_cbranch_execnz .LBB1_25
.LBB1_26:
	s_or_b32 exec_lo, exec_lo, s12
	s_lshr_b32 s5, s33, 5
	s_mov_b32 s4, 0
.LBB1_27:                               ; =>This Inner Loop Header: Depth=1
	v_mov_b32_e32 v0, s5
	s_add_i32 s5, s5, 1
	buffer_load_ubyte v0, v0, s[0:3], 0 offen
	s_waitcnt vmcnt(0)
	v_cmp_eq_u16_e32 vcc_lo, 0, v0
	v_mov_b32_e32 v0, s5
	s_or_b32 s4, vcc_lo, s4
	s_andn2_b32 exec_lo, exec_lo, s4
	s_cbranch_execnz .LBB1_27
; %bb.28:
	s_or_b32 exec_lo, exec_lo, s4
	s_lshr_b32 s4, s33, 5
	s_cmp_lg_u32 s4, -1
	s_cbranch_scc0 .LBB1_113
; %bb.29:
	v_lshrrev_b32_e64 v1, 5, s33
	v_and_b32_e32 v39, 2, v13
	v_mov_b32_e32 v16, 0
	v_and_b32_e32 v9, -3, v13
	v_mov_b32_e32 v10, v14
	v_subrev_nc_u32_e32 v0, v1, v0
	v_lshrrev_b32_e64 v48, 5, s33
	v_mov_b32_e32 v17, 2
	v_mov_b32_e32 v18, 1
	s_mov_b32 s15, 0
	v_ashrrev_i32_e32 v1, 31, v0
	s_mov_b32 s14, 0
	s_branch .LBB1_31
.LBB1_30:                               ;   in Loop: Header=BB1_31 Depth=1
	s_or_b32 exec_lo, exec_lo, s12
	v_sub_co_u32 v0, vcc_lo, v0, v49
	v_sub_co_ci_u32_e64 v1, null, v1, v33, vcc_lo
	v_add_nc_u32_e32 v48, v48, v49
	v_cmp_eq_u64_e32 vcc_lo, 0, v[0:1]
	s_or_b32 s14, vcc_lo, s14
	s_andn2_b32 exec_lo, exec_lo, s14
	s_cbranch_execz .LBB1_114
.LBB1_31:                               ; =>This Loop Header: Depth=1
                                        ;     Child Loop BB1_34 Depth 2
                                        ;     Child Loop BB1_42 Depth 2
	;; [unrolled: 1-line block ×11, first 2 shown]
	v_cmp_gt_u64_e32 vcc_lo, 56, v[0:1]
	v_add_nc_u32_e32 v21, 8, v48
	s_mov_b32 s5, exec_lo
	v_cndmask_b32_e32 v49, 56, v0, vcc_lo
	v_cmpx_gt_u64_e32 8, v[0:1]
	s_xor_b32 s5, exec_lo, s5
	s_cbranch_execz .LBB1_37
; %bb.32:                               ;   in Loop: Header=BB1_31 Depth=1
	v_mov_b32_e32 v11, 0
	v_mov_b32_e32 v12, 0
	s_mov_b32 s12, exec_lo
	v_cmpx_ne_u64_e32 0, v[0:1]
	s_cbranch_execz .LBB1_36
; %bb.33:                               ;   in Loop: Header=BB1_31 Depth=1
	v_mov_b32_e32 v11, 0
	v_mov_b32_e32 v12, 0
	s_mov_b64 s[10:11], 0
	s_mov_b32 s13, 0
	s_mov_b32 s16, 0
	.p2align	6
.LBB1_34:                               ;   Parent Loop BB1_31 Depth=1
                                        ; =>  This Inner Loop Header: Depth=2
	v_add_nc_u32_e32 v15, s16, v48
	v_mov_b32_e32 v20, s15
	s_add_i32 s16, s16, 1
	v_cmp_eq_u32_e64 s4, s16, v49
	buffer_load_ubyte v15, v15, s[0:3], 0 offen
	s_waitcnt vmcnt(0)
	v_and_b32_e32 v19, 0xffff, v15
	v_lshlrev_b64 v[19:20], s10, v[19:20]
	s_add_u32 s10, s10, 8
	s_addc_u32 s11, s11, 0
	s_or_b32 s13, s4, s13
	v_or_b32_e32 v12, v20, v12
	v_or_b32_e32 v11, v19, v11
	s_andn2_b32 exec_lo, exec_lo, s13
	s_cbranch_execnz .LBB1_34
; %bb.35:                               ;   in Loop: Header=BB1_31 Depth=1
	s_or_b32 exec_lo, exec_lo, s13
.LBB1_36:                               ;   in Loop: Header=BB1_31 Depth=1
	s_or_b32 exec_lo, exec_lo, s12
	v_mov_b32_e32 v21, v48
.LBB1_37:                               ;   in Loop: Header=BB1_31 Depth=1
	s_or_saveexec_b32 s4, s5
	v_mov_b32_e32 v22, 0
	s_xor_b32 exec_lo, exec_lo, s4
	s_cbranch_execz .LBB1_39
; %bb.38:                               ;   in Loop: Header=BB1_31 Depth=1
	s_clause 0x1
	buffer_load_dword v11, v48, s[0:3], 0 offen
	buffer_load_dword v12, v48, s[0:3], 0 offen offset:4
	v_add_nc_u32_e32 v22, -8, v49
.LBB1_39:                               ;   in Loop: Header=BB1_31 Depth=1
	s_or_b32 exec_lo, exec_lo, s4
	v_add_nc_u32_e32 v15, 8, v21
	s_mov_b32 s5, exec_lo
                                        ; implicit-def: $vgpr19_vgpr20
	v_cmpx_gt_u32_e32 8, v22
	s_xor_b32 s5, exec_lo, s5
	s_cbranch_execz .LBB1_45
; %bb.40:                               ;   in Loop: Header=BB1_31 Depth=1
	v_mov_b32_e32 v19, 0
	v_mov_b32_e32 v20, 0
	s_mov_b32 s12, exec_lo
	v_cmpx_ne_u32_e32 0, v22
	s_cbranch_execz .LBB1_44
; %bb.41:                               ;   in Loop: Header=BB1_31 Depth=1
	v_mov_b32_e32 v19, 0
	v_mov_b32_e32 v20, 0
	s_mov_b64 s[10:11], 0
	s_mov_b32 s13, 0
	s_mov_b32 s16, 0
	.p2align	6
.LBB1_42:                               ;   Parent Loop BB1_31 Depth=1
                                        ; =>  This Inner Loop Header: Depth=2
	v_add_nc_u32_e32 v15, s16, v21
	v_mov_b32_e32 v24, s15
	s_add_i32 s16, s16, 1
	v_cmp_eq_u32_e64 s4, s16, v22
	buffer_load_ubyte v15, v15, s[0:3], 0 offen
	s_waitcnt vmcnt(0)
	v_and_b32_e32 v23, 0xffff, v15
	v_lshlrev_b64 v[23:24], s10, v[23:24]
	s_add_u32 s10, s10, 8
	s_addc_u32 s11, s11, 0
	s_or_b32 s13, s4, s13
	v_or_b32_e32 v20, v24, v20
	v_or_b32_e32 v19, v23, v19
	s_andn2_b32 exec_lo, exec_lo, s13
	s_cbranch_execnz .LBB1_42
; %bb.43:                               ;   in Loop: Header=BB1_31 Depth=1
	s_or_b32 exec_lo, exec_lo, s13
.LBB1_44:                               ;   in Loop: Header=BB1_31 Depth=1
	s_or_b32 exec_lo, exec_lo, s12
	v_mov_b32_e32 v15, v21
                                        ; implicit-def: $vgpr22
.LBB1_45:                               ;   in Loop: Header=BB1_31 Depth=1
	s_or_saveexec_b32 s4, s5
	v_mov_b32_e32 v23, 0
	s_xor_b32 exec_lo, exec_lo, s4
	s_cbranch_execz .LBB1_47
; %bb.46:                               ;   in Loop: Header=BB1_31 Depth=1
	s_clause 0x1
	buffer_load_dword v19, v21, s[0:3], 0 offen
	buffer_load_dword v20, v21, s[0:3], 0 offen offset:4
	v_add_nc_u32_e32 v23, -8, v22
.LBB1_47:                               ;   in Loop: Header=BB1_31 Depth=1
	s_or_b32 exec_lo, exec_lo, s4
	v_add_nc_u32_e32 v25, 8, v15
	s_mov_b32 s5, exec_lo
	v_cmpx_gt_u32_e32 8, v23
	s_xor_b32 s5, exec_lo, s5
	s_cbranch_execz .LBB1_53
; %bb.48:                               ;   in Loop: Header=BB1_31 Depth=1
	v_mov_b32_e32 v21, 0
	v_mov_b32_e32 v22, 0
	s_mov_b32 s12, exec_lo
	v_cmpx_ne_u32_e32 0, v23
	s_cbranch_execz .LBB1_52
; %bb.49:                               ;   in Loop: Header=BB1_31 Depth=1
	v_mov_b32_e32 v21, 0
	v_mov_b32_e32 v22, 0
	s_mov_b64 s[10:11], 0
	s_mov_b32 s13, 0
	s_mov_b32 s16, 0
	.p2align	6
.LBB1_50:                               ;   Parent Loop BB1_31 Depth=1
                                        ; =>  This Inner Loop Header: Depth=2
	v_add_nc_u32_e32 v24, s16, v15
	v_mov_b32_e32 v25, s15
	s_add_i32 s16, s16, 1
	v_cmp_eq_u32_e64 s4, s16, v23
	buffer_load_ubyte v24, v24, s[0:3], 0 offen
	s_waitcnt vmcnt(0)
	v_and_b32_e32 v24, 0xffff, v24
	v_lshlrev_b64 v[24:25], s10, v[24:25]
	s_add_u32 s10, s10, 8
	s_addc_u32 s11, s11, 0
	s_or_b32 s13, s4, s13
	v_or_b32_e32 v22, v25, v22
	v_or_b32_e32 v21, v24, v21
	s_andn2_b32 exec_lo, exec_lo, s13
	s_cbranch_execnz .LBB1_50
; %bb.51:                               ;   in Loop: Header=BB1_31 Depth=1
	s_or_b32 exec_lo, exec_lo, s13
.LBB1_52:                               ;   in Loop: Header=BB1_31 Depth=1
	s_or_b32 exec_lo, exec_lo, s12
	v_mov_b32_e32 v25, v15
                                        ; implicit-def: $vgpr23
.LBB1_53:                               ;   in Loop: Header=BB1_31 Depth=1
	s_or_saveexec_b32 s4, s5
	v_mov_b32_e32 v26, 0
	s_xor_b32 exec_lo, exec_lo, s4
	s_cbranch_execz .LBB1_55
; %bb.54:                               ;   in Loop: Header=BB1_31 Depth=1
	s_clause 0x1
	buffer_load_dword v21, v15, s[0:3], 0 offen
	buffer_load_dword v22, v15, s[0:3], 0 offen offset:4
	v_add_nc_u32_e32 v26, -8, v23
.LBB1_55:                               ;   in Loop: Header=BB1_31 Depth=1
	s_or_b32 exec_lo, exec_lo, s4
	v_add_nc_u32_e32 v15, 8, v25
	s_mov_b32 s5, exec_lo
                                        ; implicit-def: $vgpr23_vgpr24
	v_cmpx_gt_u32_e32 8, v26
	s_xor_b32 s5, exec_lo, s5
	s_cbranch_execz .LBB1_61
; %bb.56:                               ;   in Loop: Header=BB1_31 Depth=1
	v_mov_b32_e32 v23, 0
	v_mov_b32_e32 v24, 0
	s_mov_b32 s12, exec_lo
	v_cmpx_ne_u32_e32 0, v26
	s_cbranch_execz .LBB1_60
; %bb.57:                               ;   in Loop: Header=BB1_31 Depth=1
	v_mov_b32_e32 v23, 0
	v_mov_b32_e32 v24, 0
	s_mov_b64 s[10:11], 0
	s_mov_b32 s13, 0
	s_mov_b32 s16, 0
	.p2align	6
.LBB1_58:                               ;   Parent Loop BB1_31 Depth=1
                                        ; =>  This Inner Loop Header: Depth=2
	v_add_nc_u32_e32 v15, s16, v25
	v_mov_b32_e32 v28, s15
	s_add_i32 s16, s16, 1
	v_cmp_eq_u32_e64 s4, s16, v26
	buffer_load_ubyte v15, v15, s[0:3], 0 offen
	s_waitcnt vmcnt(0)
	v_and_b32_e32 v27, 0xffff, v15
	v_lshlrev_b64 v[27:28], s10, v[27:28]
	s_add_u32 s10, s10, 8
	s_addc_u32 s11, s11, 0
	s_or_b32 s13, s4, s13
	v_or_b32_e32 v24, v28, v24
	v_or_b32_e32 v23, v27, v23
	s_andn2_b32 exec_lo, exec_lo, s13
	s_cbranch_execnz .LBB1_58
; %bb.59:                               ;   in Loop: Header=BB1_31 Depth=1
	s_or_b32 exec_lo, exec_lo, s13
.LBB1_60:                               ;   in Loop: Header=BB1_31 Depth=1
	s_or_b32 exec_lo, exec_lo, s12
	v_mov_b32_e32 v15, v25
                                        ; implicit-def: $vgpr26
.LBB1_61:                               ;   in Loop: Header=BB1_31 Depth=1
	s_or_saveexec_b32 s4, s5
	v_mov_b32_e32 v27, 0
	s_xor_b32 exec_lo, exec_lo, s4
	s_cbranch_execz .LBB1_63
; %bb.62:                               ;   in Loop: Header=BB1_31 Depth=1
	s_clause 0x1
	buffer_load_dword v23, v25, s[0:3], 0 offen
	buffer_load_dword v24, v25, s[0:3], 0 offen offset:4
	v_add_nc_u32_e32 v27, -8, v26
.LBB1_63:                               ;   in Loop: Header=BB1_31 Depth=1
	s_or_b32 exec_lo, exec_lo, s4
	v_add_nc_u32_e32 v29, 8, v15
	s_mov_b32 s5, exec_lo
	v_cmpx_gt_u32_e32 8, v27
	s_xor_b32 s5, exec_lo, s5
	s_cbranch_execz .LBB1_69
; %bb.64:                               ;   in Loop: Header=BB1_31 Depth=1
	v_mov_b32_e32 v25, 0
	v_mov_b32_e32 v26, 0
	s_mov_b32 s12, exec_lo
	v_cmpx_ne_u32_e32 0, v27
	s_cbranch_execz .LBB1_68
; %bb.65:                               ;   in Loop: Header=BB1_31 Depth=1
	v_mov_b32_e32 v25, 0
	v_mov_b32_e32 v26, 0
	s_mov_b64 s[10:11], 0
	s_mov_b32 s13, 0
	s_mov_b32 s16, 0
	.p2align	6
.LBB1_66:                               ;   Parent Loop BB1_31 Depth=1
                                        ; =>  This Inner Loop Header: Depth=2
	v_add_nc_u32_e32 v28, s16, v15
	v_mov_b32_e32 v29, s15
	s_add_i32 s16, s16, 1
	v_cmp_eq_u32_e64 s4, s16, v27
	buffer_load_ubyte v28, v28, s[0:3], 0 offen
	s_waitcnt vmcnt(0)
	v_and_b32_e32 v28, 0xffff, v28
	v_lshlrev_b64 v[28:29], s10, v[28:29]
	s_add_u32 s10, s10, 8
	s_addc_u32 s11, s11, 0
	s_or_b32 s13, s4, s13
	v_or_b32_e32 v26, v29, v26
	v_or_b32_e32 v25, v28, v25
	s_andn2_b32 exec_lo, exec_lo, s13
	s_cbranch_execnz .LBB1_66
; %bb.67:                               ;   in Loop: Header=BB1_31 Depth=1
	s_or_b32 exec_lo, exec_lo, s13
.LBB1_68:                               ;   in Loop: Header=BB1_31 Depth=1
	s_or_b32 exec_lo, exec_lo, s12
	v_mov_b32_e32 v29, v15
                                        ; implicit-def: $vgpr27
.LBB1_69:                               ;   in Loop: Header=BB1_31 Depth=1
	s_or_saveexec_b32 s4, s5
	v_mov_b32_e32 v30, 0
	s_xor_b32 exec_lo, exec_lo, s4
	s_cbranch_execz .LBB1_71
; %bb.70:                               ;   in Loop: Header=BB1_31 Depth=1
	s_clause 0x1
	buffer_load_dword v25, v15, s[0:3], 0 offen
	buffer_load_dword v26, v15, s[0:3], 0 offen offset:4
	v_add_nc_u32_e32 v30, -8, v27
.LBB1_71:                               ;   in Loop: Header=BB1_31 Depth=1
	s_or_b32 exec_lo, exec_lo, s4
	v_add_nc_u32_e32 v15, 8, v29
	s_mov_b32 s5, exec_lo
                                        ; implicit-def: $vgpr27_vgpr28
	v_cmpx_gt_u32_e32 8, v30
	s_xor_b32 s5, exec_lo, s5
	s_cbranch_execz .LBB1_77
; %bb.72:                               ;   in Loop: Header=BB1_31 Depth=1
	v_mov_b32_e32 v27, 0
	v_mov_b32_e32 v28, 0
	s_mov_b32 s12, exec_lo
	v_cmpx_ne_u32_e32 0, v30
	s_cbranch_execz .LBB1_76
; %bb.73:                               ;   in Loop: Header=BB1_31 Depth=1
	v_mov_b32_e32 v27, 0
	v_mov_b32_e32 v28, 0
	s_mov_b64 s[10:11], 0
	s_mov_b32 s13, 0
	s_mov_b32 s16, 0
	.p2align	6
.LBB1_74:                               ;   Parent Loop BB1_31 Depth=1
                                        ; =>  This Inner Loop Header: Depth=2
	v_add_nc_u32_e32 v15, s16, v29
	v_mov_b32_e32 v32, s15
	s_add_i32 s16, s16, 1
	v_cmp_eq_u32_e64 s4, s16, v30
	buffer_load_ubyte v15, v15, s[0:3], 0 offen
	s_waitcnt vmcnt(0)
	v_and_b32_e32 v31, 0xffff, v15
	v_lshlrev_b64 v[31:32], s10, v[31:32]
	s_add_u32 s10, s10, 8
	s_addc_u32 s11, s11, 0
	s_or_b32 s13, s4, s13
	v_or_b32_e32 v28, v32, v28
	v_or_b32_e32 v27, v31, v27
	s_andn2_b32 exec_lo, exec_lo, s13
	s_cbranch_execnz .LBB1_74
; %bb.75:                               ;   in Loop: Header=BB1_31 Depth=1
	s_or_b32 exec_lo, exec_lo, s13
.LBB1_76:                               ;   in Loop: Header=BB1_31 Depth=1
	s_or_b32 exec_lo, exec_lo, s12
	v_mov_b32_e32 v15, v29
                                        ; implicit-def: $vgpr30
.LBB1_77:                               ;   in Loop: Header=BB1_31 Depth=1
	s_or_saveexec_b32 s4, s5
	v_mov_b32_e32 v31, 0
	s_xor_b32 exec_lo, exec_lo, s4
	s_cbranch_execz .LBB1_79
; %bb.78:                               ;   in Loop: Header=BB1_31 Depth=1
	s_clause 0x1
	buffer_load_dword v27, v29, s[0:3], 0 offen
	buffer_load_dword v28, v29, s[0:3], 0 offen offset:4
	v_add_nc_u32_e32 v31, -8, v30
.LBB1_79:                               ;   in Loop: Header=BB1_31 Depth=1
	s_or_b32 exec_lo, exec_lo, s4
	s_mov_b32 s5, exec_lo
	v_cmpx_gt_u32_e32 8, v31
	s_xor_b32 s5, exec_lo, s5
	s_cbranch_execz .LBB1_85
; %bb.80:                               ;   in Loop: Header=BB1_31 Depth=1
	v_mov_b32_e32 v29, 0
	v_mov_b32_e32 v30, 0
	s_mov_b32 s12, exec_lo
	v_cmpx_ne_u32_e32 0, v31
	s_cbranch_execz .LBB1_84
; %bb.81:                               ;   in Loop: Header=BB1_31 Depth=1
	v_mov_b32_e32 v29, 0
	v_mov_b32_e32 v30, 0
	s_mov_b64 s[10:11], 0
	s_mov_b32 s13, 0
	.p2align	6
.LBB1_82:                               ;   Parent Loop BB1_31 Depth=1
                                        ; =>  This Inner Loop Header: Depth=2
	buffer_load_ubyte v32, v15, s[0:3], 0 offen
	v_mov_b32_e32 v33, s15
	v_add_nc_u32_e32 v31, -1, v31
	v_add_nc_u32_e32 v15, 1, v15
	v_cmp_eq_u32_e64 s4, 0, v31
	s_waitcnt vmcnt(0)
	v_and_b32_e32 v32, 0xffff, v32
	v_lshlrev_b64 v[32:33], s10, v[32:33]
	s_add_u32 s10, s10, 8
	s_addc_u32 s11, s11, 0
	s_or_b32 s13, s4, s13
	v_or_b32_e32 v30, v33, v30
	v_or_b32_e32 v29, v32, v29
	s_andn2_b32 exec_lo, exec_lo, s13
	s_cbranch_execnz .LBB1_82
; %bb.83:                               ;   in Loop: Header=BB1_31 Depth=1
	s_or_b32 exec_lo, exec_lo, s13
.LBB1_84:                               ;   in Loop: Header=BB1_31 Depth=1
	s_or_b32 exec_lo, exec_lo, s12
                                        ; implicit-def: $vgpr15
.LBB1_85:                               ;   in Loop: Header=BB1_31 Depth=1
	s_andn2_saveexec_b32 s4, s5
	s_cbranch_execz .LBB1_87
; %bb.86:                               ;   in Loop: Header=BB1_31 Depth=1
	s_clause 0x1
	buffer_load_dword v29, v15, s[0:3], 0 offen
	buffer_load_dword v30, v15, s[0:3], 0 offen offset:4
.LBB1_87:                               ;   in Loop: Header=BB1_31 Depth=1
	s_or_b32 exec_lo, exec_lo, s4
	v_readfirstlane_b32 s4, v37
	v_mov_b32_e32 v35, 0
	v_mov_b32_e32 v36, 0
	v_cmp_eq_u32_e64 s4, s4, v37
	s_and_saveexec_b32 s10, s4
	s_cbranch_execz .LBB1_93
; %bb.88:                               ;   in Loop: Header=BB1_31 Depth=1
	global_load_dwordx2 v[33:34], v16, s[6:7] offset:24 glc dlc
	s_waitcnt vmcnt(0)
	buffer_gl1_inv
	buffer_gl0_inv
	s_clause 0x1
	global_load_dwordx2 v[31:32], v16, s[6:7] offset:40
	global_load_dwordx2 v[35:36], v16, s[6:7]
	s_mov_b32 s11, exec_lo
	s_waitcnt vmcnt(1)
	v_and_b32_e32 v15, v32, v34
	v_and_b32_e32 v31, v31, v33
	v_mul_lo_u32 v15, v15, 24
	v_mul_hi_u32 v32, v31, 24
	v_mul_lo_u32 v31, v31, 24
	v_add_nc_u32_e32 v15, v32, v15
	s_waitcnt vmcnt(0)
	v_add_co_u32 v31, s5, v35, v31
	v_add_co_ci_u32_e64 v32, null, v36, v15, s5
	global_load_dwordx2 v[31:32], v[31:32], off glc dlc
	s_waitcnt vmcnt(0)
	global_atomic_cmpswap_x2 v[35:36], v16, v[31:34], s[6:7] offset:24 glc
	s_waitcnt vmcnt(0)
	buffer_gl1_inv
	buffer_gl0_inv
	v_cmpx_ne_u64_e64 v[35:36], v[33:34]
	s_cbranch_execz .LBB1_92
; %bb.89:                               ;   in Loop: Header=BB1_31 Depth=1
	s_mov_b32 s12, 0
	.p2align	6
.LBB1_90:                               ;   Parent Loop BB1_31 Depth=1
                                        ; =>  This Inner Loop Header: Depth=2
	s_sleep 1
	s_clause 0x1
	global_load_dwordx2 v[31:32], v16, s[6:7] offset:40
	global_load_dwordx2 v[50:51], v16, s[6:7]
	v_mov_b32_e32 v33, v35
	v_mov_b32_e32 v34, v36
	s_waitcnt vmcnt(1)
	v_and_b32_e32 v15, v31, v33
	v_and_b32_e32 v31, v32, v34
	s_waitcnt vmcnt(0)
	v_mad_u64_u32 v[35:36], null, v15, 24, v[50:51]
	v_mov_b32_e32 v15, v36
	v_mad_u64_u32 v[31:32], null, v31, 24, v[15:16]
	v_mov_b32_e32 v36, v31
	global_load_dwordx2 v[31:32], v[35:36], off glc dlc
	s_waitcnt vmcnt(0)
	global_atomic_cmpswap_x2 v[35:36], v16, v[31:34], s[6:7] offset:24 glc
	s_waitcnt vmcnt(0)
	buffer_gl1_inv
	buffer_gl0_inv
	v_cmp_eq_u64_e64 s5, v[35:36], v[33:34]
	s_or_b32 s12, s5, s12
	s_andn2_b32 exec_lo, exec_lo, s12
	s_cbranch_execnz .LBB1_90
; %bb.91:                               ;   in Loop: Header=BB1_31 Depth=1
	s_or_b32 exec_lo, exec_lo, s12
.LBB1_92:                               ;   in Loop: Header=BB1_31 Depth=1
	s_or_b32 exec_lo, exec_lo, s11
.LBB1_93:                               ;   in Loop: Header=BB1_31 Depth=1
	s_or_b32 exec_lo, exec_lo, s10
	s_clause 0x1
	global_load_dwordx2 v[50:51], v16, s[6:7] offset:40
	global_load_dwordx4 v[31:34], v16, s[6:7]
	v_readfirstlane_b32 s11, v36
	v_readfirstlane_b32 s10, v35
	s_mov_b32 s16, exec_lo
	s_waitcnt vmcnt(1)
	v_readfirstlane_b32 s12, v50
	v_readfirstlane_b32 s13, v51
	s_and_b64 s[12:13], s[12:13], s[10:11]
	s_mul_i32 s5, s13, 24
	s_mul_hi_u32 s17, s12, 24
	s_mul_i32 s18, s12, 24
	s_add_i32 s17, s17, s5
	s_waitcnt vmcnt(0)
	v_add_co_u32 v35, s5, v31, s18
	v_add_co_ci_u32_e64 v36, null, s17, v32, s5
	s_and_saveexec_b32 s5, s4
	s_cbranch_execz .LBB1_95
; %bb.94:                               ;   in Loop: Header=BB1_31 Depth=1
	v_mov_b32_e32 v15, s16
	global_store_dwordx4 v[35:36], v[15:18], off offset:8
.LBB1_95:                               ;   in Loop: Header=BB1_31 Depth=1
	s_or_b32 exec_lo, exec_lo, s5
	v_cmp_gt_u64_e64 s5, 57, v[0:1]
	v_and_b32_e32 v9, 0xffffff1f, v9
	s_lshl_b64 s[12:13], s[12:13], 12
	v_cndmask_b32_e64 v15, 0, v39, s5
	v_add_co_u32 v50, s5, v33, s12
	v_add_co_ci_u32_e64 v34, null, s13, v34, s5
	v_lshl_add_u32 v33, v49, 2, 28
	v_or_b32_e32 v9, v9, v15
	v_readfirstlane_b32 s12, v50
	v_readfirstlane_b32 s13, v34
	v_and_or_b32 v9, 0x1e0, v33, v9
	v_cndmask_b32_e32 v33, 0, v1, vcc_lo
	global_store_dwordx4 v38, v[19:22], s[12:13] offset:16
	global_store_dwordx4 v38, v[9:12], s[12:13]
	global_store_dwordx4 v38, v[23:26], s[12:13] offset:32
	global_store_dwordx4 v38, v[27:30], s[12:13] offset:48
	s_and_saveexec_b32 s5, s4
	s_cbranch_execz .LBB1_103
; %bb.96:                               ;   in Loop: Header=BB1_31 Depth=1
	s_clause 0x1
	global_load_dwordx2 v[23:24], v16, s[6:7] offset:32 glc dlc
	global_load_dwordx2 v[9:10], v16, s[6:7] offset:40
	v_mov_b32_e32 v21, s10
	v_mov_b32_e32 v22, s11
	s_waitcnt vmcnt(0)
	v_readfirstlane_b32 s12, v9
	v_readfirstlane_b32 s13, v10
	s_and_b64 s[12:13], s[12:13], s[10:11]
	s_mul_i32 s13, s13, 24
	s_mul_hi_u32 s16, s12, 24
	s_mul_i32 s12, s12, 24
	s_add_i32 s16, s16, s13
	v_add_co_u32 v19, vcc_lo, v31, s12
	v_add_co_ci_u32_e64 v20, null, s16, v32, vcc_lo
	s_mov_b32 s12, exec_lo
	global_store_dwordx2 v[19:20], v[23:24], off
	s_waitcnt_vscnt null, 0x0
	global_atomic_cmpswap_x2 v[11:12], v16, v[21:24], s[6:7] offset:32 glc
	s_waitcnt vmcnt(0)
	v_cmpx_ne_u64_e64 v[11:12], v[23:24]
	s_cbranch_execz .LBB1_99
; %bb.97:                               ;   in Loop: Header=BB1_31 Depth=1
	s_mov_b32 s13, 0
.LBB1_98:                               ;   Parent Loop BB1_31 Depth=1
                                        ; =>  This Inner Loop Header: Depth=2
	v_mov_b32_e32 v9, s10
	v_mov_b32_e32 v10, s11
	s_sleep 1
	global_store_dwordx2 v[19:20], v[11:12], off
	s_waitcnt_vscnt null, 0x0
	global_atomic_cmpswap_x2 v[9:10], v16, v[9:12], s[6:7] offset:32 glc
	s_waitcnt vmcnt(0)
	v_cmp_eq_u64_e32 vcc_lo, v[9:10], v[11:12]
	v_mov_b32_e32 v12, v10
	v_mov_b32_e32 v11, v9
	s_or_b32 s13, vcc_lo, s13
	s_andn2_b32 exec_lo, exec_lo, s13
	s_cbranch_execnz .LBB1_98
.LBB1_99:                               ;   in Loop: Header=BB1_31 Depth=1
	s_or_b32 exec_lo, exec_lo, s12
	global_load_dwordx2 v[9:10], v16, s[6:7] offset:16
	s_mov_b32 s13, exec_lo
	s_mov_b32 s12, exec_lo
	v_mbcnt_lo_u32_b32 v11, s13, 0
	v_cmpx_eq_u32_e32 0, v11
	s_cbranch_execz .LBB1_101
; %bb.100:                              ;   in Loop: Header=BB1_31 Depth=1
	s_bcnt1_i32_b32 s13, s13
	v_mov_b32_e32 v15, s13
	s_waitcnt vmcnt(0)
	global_atomic_add_x2 v[9:10], v[15:16], off offset:8
.LBB1_101:                              ;   in Loop: Header=BB1_31 Depth=1
	s_or_b32 exec_lo, exec_lo, s12
	s_waitcnt vmcnt(0)
	global_load_dwordx2 v[11:12], v[9:10], off offset:16
	s_waitcnt vmcnt(0)
	v_cmp_eq_u64_e32 vcc_lo, 0, v[11:12]
	s_cbranch_vccnz .LBB1_103
; %bb.102:                              ;   in Loop: Header=BB1_31 Depth=1
	global_load_dword v15, v[9:10], off offset:24
	s_waitcnt vmcnt(0)
	v_readfirstlane_b32 s12, v15
	s_waitcnt_vscnt null, 0x0
	global_store_dwordx2 v[11:12], v[15:16], off
	s_and_b32 m0, s12, 0x7fffff
	s_sendmsg sendmsg(MSG_INTERRUPT)
.LBB1_103:                              ;   in Loop: Header=BB1_31 Depth=1
	s_or_b32 exec_lo, exec_lo, s5
	v_add_co_u32 v9, vcc_lo, v50, v38
	v_add_co_ci_u32_e64 v10, null, 0, v34, vcc_lo
	s_branch .LBB1_107
	.p2align	6
.LBB1_104:                              ;   in Loop: Header=BB1_107 Depth=2
	s_or_b32 exec_lo, exec_lo, s5
	v_readfirstlane_b32 s5, v11
	s_cmp_eq_u32 s5, 0
	s_cbranch_scc1 .LBB1_106
; %bb.105:                              ;   in Loop: Header=BB1_107 Depth=2
	s_sleep 1
	s_cbranch_execnz .LBB1_107
	s_branch .LBB1_109
	.p2align	6
.LBB1_106:                              ;   in Loop: Header=BB1_31 Depth=1
	s_branch .LBB1_109
.LBB1_107:                              ;   Parent Loop BB1_31 Depth=1
                                        ; =>  This Inner Loop Header: Depth=2
	v_mov_b32_e32 v11, 1
	s_and_saveexec_b32 s5, s4
	s_cbranch_execz .LBB1_104
; %bb.108:                              ;   in Loop: Header=BB1_107 Depth=2
	global_load_dword v11, v[35:36], off offset:20 glc dlc
	s_waitcnt vmcnt(0)
	buffer_gl1_inv
	buffer_gl0_inv
	v_and_b32_e32 v11, 1, v11
	s_branch .LBB1_104
.LBB1_109:                              ;   in Loop: Header=BB1_31 Depth=1
	global_load_dwordx2 v[9:10], v[9:10], off
	s_and_saveexec_b32 s12, s4
	s_cbranch_execz .LBB1_30
; %bb.110:                              ;   in Loop: Header=BB1_31 Depth=1
	s_clause 0x2
	global_load_dwordx2 v[11:12], v16, s[6:7] offset:40
	global_load_dwordx2 v[23:24], v16, s[6:7] offset:24 glc dlc
	global_load_dwordx2 v[19:20], v16, s[6:7]
	s_waitcnt vmcnt(2)
	v_readfirstlane_b32 s16, v11
	v_readfirstlane_b32 s17, v12
	s_add_u32 s13, s16, 1
	s_addc_u32 s18, s17, 0
	s_add_u32 s4, s13, s10
	s_addc_u32 s5, s18, s11
	s_cmp_eq_u64 s[4:5], 0
	s_cselect_b32 s5, s18, s5
	s_cselect_b32 s4, s13, s4
	v_mov_b32_e32 v22, s5
	s_and_b64 s[10:11], s[4:5], s[16:17]
	v_mov_b32_e32 v21, s4
	s_mul_i32 s11, s11, 24
	s_mul_hi_u32 s13, s10, 24
	s_mul_i32 s10, s10, 24
	s_add_i32 s13, s13, s11
	s_waitcnt vmcnt(0)
	v_add_co_u32 v11, vcc_lo, v19, s10
	v_add_co_ci_u32_e64 v12, null, s13, v20, vcc_lo
	global_store_dwordx2 v[11:12], v[23:24], off
	s_waitcnt_vscnt null, 0x0
	global_atomic_cmpswap_x2 v[21:22], v16, v[21:24], s[6:7] offset:24 glc
	s_waitcnt vmcnt(0)
	v_cmp_ne_u64_e32 vcc_lo, v[21:22], v[23:24]
	s_and_b32 exec_lo, exec_lo, vcc_lo
	s_cbranch_execz .LBB1_30
; %bb.111:                              ;   in Loop: Header=BB1_31 Depth=1
	s_mov_b32 s10, 0
.LBB1_112:                              ;   Parent Loop BB1_31 Depth=1
                                        ; =>  This Inner Loop Header: Depth=2
	v_mov_b32_e32 v19, s4
	v_mov_b32_e32 v20, s5
	s_sleep 1
	global_store_dwordx2 v[11:12], v[21:22], off
	s_waitcnt_vscnt null, 0x0
	global_atomic_cmpswap_x2 v[19:20], v16, v[19:22], s[6:7] offset:24 glc
	s_waitcnt vmcnt(0)
	v_cmp_eq_u64_e32 vcc_lo, v[19:20], v[21:22]
	v_mov_b32_e32 v22, v20
	v_mov_b32_e32 v21, v19
	s_or_b32 s10, vcc_lo, s10
	s_andn2_b32 exec_lo, exec_lo, s10
	s_cbranch_execnz .LBB1_112
	s_branch .LBB1_30
.LBB1_113:
                                        ; implicit-def: $vgpr9_vgpr10
	s_cbranch_execnz .LBB1_115
	s_branch .LBB1_142
.LBB1_114:
	s_or_b32 exec_lo, exec_lo, s14
	s_branch .LBB1_142
.LBB1_115:
	v_readfirstlane_b32 s4, v37
	v_mov_b32_e32 v0, 0
	v_mov_b32_e32 v1, 0
	v_cmp_eq_u32_e64 s4, s4, v37
	s_and_saveexec_b32 s5, s4
	s_cbranch_execz .LBB1_121
; %bb.116:
	s_waitcnt vmcnt(0)
	v_mov_b32_e32 v9, 0
	s_mov_b32 s10, exec_lo
	global_load_dwordx2 v[17:18], v9, s[6:7] offset:24 glc dlc
	s_waitcnt vmcnt(0)
	buffer_gl1_inv
	buffer_gl0_inv
	s_clause 0x1
	global_load_dwordx2 v[0:1], v9, s[6:7] offset:40
	global_load_dwordx2 v[10:11], v9, s[6:7]
	s_waitcnt vmcnt(1)
	v_and_b32_e32 v1, v1, v18
	v_and_b32_e32 v0, v0, v17
	v_mul_lo_u32 v1, v1, 24
	v_mul_hi_u32 v12, v0, 24
	v_mul_lo_u32 v0, v0, 24
	v_add_nc_u32_e32 v1, v12, v1
	s_waitcnt vmcnt(0)
	v_add_co_u32 v0, vcc_lo, v10, v0
	v_add_co_ci_u32_e64 v1, null, v11, v1, vcc_lo
	global_load_dwordx2 v[15:16], v[0:1], off glc dlc
	s_waitcnt vmcnt(0)
	global_atomic_cmpswap_x2 v[0:1], v9, v[15:18], s[6:7] offset:24 glc
	s_waitcnt vmcnt(0)
	buffer_gl1_inv
	buffer_gl0_inv
	v_cmpx_ne_u64_e64 v[0:1], v[17:18]
	s_cbranch_execz .LBB1_120
; %bb.117:
	s_mov_b32 s11, 0
	.p2align	6
.LBB1_118:                              ; =>This Inner Loop Header: Depth=1
	s_sleep 1
	s_clause 0x1
	global_load_dwordx2 v[10:11], v9, s[6:7] offset:40
	global_load_dwordx2 v[15:16], v9, s[6:7]
	v_mov_b32_e32 v18, v1
	v_mov_b32_e32 v17, v0
	s_waitcnt vmcnt(1)
	v_and_b32_e32 v0, v10, v17
	v_and_b32_e32 v10, v11, v18
	s_waitcnt vmcnt(0)
	v_mad_u64_u32 v[0:1], null, v0, 24, v[15:16]
	v_mad_u64_u32 v[10:11], null, v10, 24, v[1:2]
	v_mov_b32_e32 v1, v10
	global_load_dwordx2 v[15:16], v[0:1], off glc dlc
	s_waitcnt vmcnt(0)
	global_atomic_cmpswap_x2 v[0:1], v9, v[15:18], s[6:7] offset:24 glc
	s_waitcnt vmcnt(0)
	buffer_gl1_inv
	buffer_gl0_inv
	v_cmp_eq_u64_e32 vcc_lo, v[0:1], v[17:18]
	s_or_b32 s11, vcc_lo, s11
	s_andn2_b32 exec_lo, exec_lo, s11
	s_cbranch_execnz .LBB1_118
; %bb.119:
	s_or_b32 exec_lo, exec_lo, s11
.LBB1_120:
	s_or_b32 exec_lo, exec_lo, s10
.LBB1_121:
	s_or_b32 exec_lo, exec_lo, s5
	v_mov_b32_e32 v15, 0
	v_readfirstlane_b32 s11, v1
	v_readfirstlane_b32 s10, v0
	s_mov_b32 s5, exec_lo
	s_clause 0x1
	global_load_dwordx2 v[16:17], v15, s[6:7] offset:40
	global_load_dwordx4 v[9:12], v15, s[6:7]
	s_waitcnt vmcnt(1)
	v_readfirstlane_b32 s12, v16
	v_readfirstlane_b32 s13, v17
	s_and_b64 s[12:13], s[12:13], s[10:11]
	s_mul_i32 s14, s13, 24
	s_mul_hi_u32 s15, s12, 24
	s_mul_i32 s16, s12, 24
	s_add_i32 s15, s15, s14
	s_waitcnt vmcnt(0)
	v_add_co_u32 v0, vcc_lo, v9, s16
	v_add_co_ci_u32_e64 v1, null, s15, v10, vcc_lo
	s_and_saveexec_b32 s14, s4
	s_cbranch_execz .LBB1_123
; %bb.122:
	v_mov_b32_e32 v16, s5
	v_mov_b32_e32 v17, v15
	;; [unrolled: 1-line block ×4, first 2 shown]
	global_store_dwordx4 v[0:1], v[16:19], off offset:8
.LBB1_123:
	s_or_b32 exec_lo, exec_lo, s14
	s_lshl_b64 s[12:13], s[12:13], 12
	v_and_or_b32 v13, 0xffffff1f, v13, 32
	v_add_co_u32 v11, vcc_lo, v11, s12
	v_add_co_ci_u32_e64 v12, null, s13, v12, vcc_lo
	s_mov_b32 s12, 0
	v_add_co_u32 v17, vcc_lo, v11, v38
	s_mov_b32 s15, s12
	s_mov_b32 s13, s12
	;; [unrolled: 1-line block ×3, first 2 shown]
	v_mov_b32_e32 v16, v15
	v_readfirstlane_b32 s16, v11
	v_readfirstlane_b32 s17, v12
	v_mov_b32_e32 v22, s15
	v_add_co_ci_u32_e64 v18, null, 0, v12, vcc_lo
	v_mov_b32_e32 v21, s14
	v_mov_b32_e32 v20, s13
	;; [unrolled: 1-line block ×3, first 2 shown]
	global_store_dwordx4 v38, v[13:16], s[16:17]
	global_store_dwordx4 v38, v[19:22], s[16:17] offset:16
	global_store_dwordx4 v38, v[19:22], s[16:17] offset:32
	;; [unrolled: 1-line block ×3, first 2 shown]
	s_and_saveexec_b32 s5, s4
	s_cbranch_execz .LBB1_131
; %bb.124:
	v_mov_b32_e32 v15, 0
	v_mov_b32_e32 v19, s10
	;; [unrolled: 1-line block ×3, first 2 shown]
	s_clause 0x1
	global_load_dwordx2 v[21:22], v15, s[6:7] offset:32 glc dlc
	global_load_dwordx2 v[11:12], v15, s[6:7] offset:40
	s_waitcnt vmcnt(0)
	v_readfirstlane_b32 s12, v11
	v_readfirstlane_b32 s13, v12
	s_and_b64 s[12:13], s[12:13], s[10:11]
	s_mul_i32 s13, s13, 24
	s_mul_hi_u32 s14, s12, 24
	s_mul_i32 s12, s12, 24
	s_add_i32 s14, s14, s13
	v_add_co_u32 v13, vcc_lo, v9, s12
	v_add_co_ci_u32_e64 v14, null, s14, v10, vcc_lo
	s_mov_b32 s12, exec_lo
	global_store_dwordx2 v[13:14], v[21:22], off
	s_waitcnt_vscnt null, 0x0
	global_atomic_cmpswap_x2 v[11:12], v15, v[19:22], s[6:7] offset:32 glc
	s_waitcnt vmcnt(0)
	v_cmpx_ne_u64_e64 v[11:12], v[21:22]
	s_cbranch_execz .LBB1_127
; %bb.125:
	s_mov_b32 s13, 0
.LBB1_126:                              ; =>This Inner Loop Header: Depth=1
	v_mov_b32_e32 v9, s10
	v_mov_b32_e32 v10, s11
	s_sleep 1
	global_store_dwordx2 v[13:14], v[11:12], off
	s_waitcnt_vscnt null, 0x0
	global_atomic_cmpswap_x2 v[9:10], v15, v[9:12], s[6:7] offset:32 glc
	s_waitcnt vmcnt(0)
	v_cmp_eq_u64_e32 vcc_lo, v[9:10], v[11:12]
	v_mov_b32_e32 v12, v10
	v_mov_b32_e32 v11, v9
	s_or_b32 s13, vcc_lo, s13
	s_andn2_b32 exec_lo, exec_lo, s13
	s_cbranch_execnz .LBB1_126
.LBB1_127:
	s_or_b32 exec_lo, exec_lo, s12
	v_mov_b32_e32 v12, 0
	s_mov_b32 s13, exec_lo
	s_mov_b32 s12, exec_lo
	v_mbcnt_lo_u32_b32 v11, s13, 0
	global_load_dwordx2 v[9:10], v12, s[6:7] offset:16
	v_cmpx_eq_u32_e32 0, v11
	s_cbranch_execz .LBB1_129
; %bb.128:
	s_bcnt1_i32_b32 s13, s13
	v_mov_b32_e32 v11, s13
	s_waitcnt vmcnt(0)
	global_atomic_add_x2 v[9:10], v[11:12], off offset:8
.LBB1_129:
	s_or_b32 exec_lo, exec_lo, s12
	s_waitcnt vmcnt(0)
	global_load_dwordx2 v[11:12], v[9:10], off offset:16
	s_waitcnt vmcnt(0)
	v_cmp_eq_u64_e32 vcc_lo, 0, v[11:12]
	s_cbranch_vccnz .LBB1_131
; %bb.130:
	global_load_dword v9, v[9:10], off offset:24
	v_mov_b32_e32 v10, 0
	s_waitcnt vmcnt(0)
	v_readfirstlane_b32 s12, v9
	s_waitcnt_vscnt null, 0x0
	global_store_dwordx2 v[11:12], v[9:10], off
	s_and_b32 m0, s12, 0x7fffff
	s_sendmsg sendmsg(MSG_INTERRUPT)
.LBB1_131:
	s_or_b32 exec_lo, exec_lo, s5
	s_branch .LBB1_135
	.p2align	6
.LBB1_132:                              ;   in Loop: Header=BB1_135 Depth=1
	s_or_b32 exec_lo, exec_lo, s5
	v_readfirstlane_b32 s5, v9
	s_cmp_eq_u32 s5, 0
	s_cbranch_scc1 .LBB1_134
; %bb.133:                              ;   in Loop: Header=BB1_135 Depth=1
	s_sleep 1
	s_cbranch_execnz .LBB1_135
	s_branch .LBB1_137
	.p2align	6
.LBB1_134:
	s_branch .LBB1_137
.LBB1_135:                              ; =>This Inner Loop Header: Depth=1
	v_mov_b32_e32 v9, 1
	s_and_saveexec_b32 s5, s4
	s_cbranch_execz .LBB1_132
; %bb.136:                              ;   in Loop: Header=BB1_135 Depth=1
	global_load_dword v9, v[0:1], off offset:20 glc dlc
	s_waitcnt vmcnt(0)
	buffer_gl1_inv
	buffer_gl0_inv
	v_and_b32_e32 v9, 1, v9
	s_branch .LBB1_132
.LBB1_137:
	global_load_dwordx2 v[9:10], v[17:18], off
	s_and_saveexec_b32 s12, s4
	s_cbranch_execz .LBB1_141
; %bb.138:
	v_mov_b32_e32 v15, 0
	s_clause 0x2
	global_load_dwordx2 v[0:1], v15, s[6:7] offset:40
	global_load_dwordx2 v[18:19], v15, s[6:7] offset:24 glc dlc
	global_load_dwordx2 v[11:12], v15, s[6:7]
	s_waitcnt vmcnt(2)
	v_readfirstlane_b32 s14, v0
	v_readfirstlane_b32 s15, v1
	s_add_u32 s13, s14, 1
	s_addc_u32 s16, s15, 0
	s_add_u32 s4, s13, s10
	s_addc_u32 s5, s16, s11
	s_cmp_eq_u64 s[4:5], 0
	s_cselect_b32 s5, s16, s5
	s_cselect_b32 s4, s13, s4
	v_mov_b32_e32 v17, s5
	s_and_b64 s[10:11], s[4:5], s[14:15]
	v_mov_b32_e32 v16, s4
	s_mul_i32 s11, s11, 24
	s_mul_hi_u32 s13, s10, 24
	s_mul_i32 s10, s10, 24
	s_add_i32 s13, s13, s11
	s_waitcnt vmcnt(0)
	v_add_co_u32 v0, vcc_lo, v11, s10
	v_add_co_ci_u32_e64 v1, null, s13, v12, vcc_lo
	global_store_dwordx2 v[0:1], v[18:19], off
	s_waitcnt_vscnt null, 0x0
	global_atomic_cmpswap_x2 v[13:14], v15, v[16:19], s[6:7] offset:24 glc
	s_waitcnt vmcnt(0)
	v_cmp_ne_u64_e32 vcc_lo, v[13:14], v[18:19]
	s_and_b32 exec_lo, exec_lo, vcc_lo
	s_cbranch_execz .LBB1_141
; %bb.139:
	s_mov_b32 s10, 0
.LBB1_140:                              ; =>This Inner Loop Header: Depth=1
	v_mov_b32_e32 v11, s4
	v_mov_b32_e32 v12, s5
	s_sleep 1
	global_store_dwordx2 v[0:1], v[13:14], off
	s_waitcnt_vscnt null, 0x0
	global_atomic_cmpswap_x2 v[11:12], v15, v[11:14], s[6:7] offset:24 glc
	s_waitcnt vmcnt(0)
	v_cmp_eq_u64_e32 vcc_lo, v[11:12], v[13:14]
	v_mov_b32_e32 v14, v12
	v_mov_b32_e32 v13, v11
	s_or_b32 s10, vcc_lo, s10
	s_andn2_b32 exec_lo, exec_lo, s10
	s_cbranch_execnz .LBB1_140
.LBB1_141:
	s_or_b32 exec_lo, exec_lo, s12
.LBB1_142:
	v_mov_b32_e32 v12, v3
	v_mov_b32_e32 v11, v2
	s_mov_b32 s4, 0
.LBB1_143:                              ; =>This Inner Loop Header: Depth=1
	global_load_ubyte v13, v[11:12], off
	v_add_co_u32 v0, vcc_lo, v11, 1
	v_add_co_ci_u32_e64 v1, null, 0, v12, vcc_lo
	v_mov_b32_e32 v12, v1
	v_mov_b32_e32 v11, v0
	s_waitcnt vmcnt(0)
	v_cmp_eq_u16_e32 vcc_lo, 0, v13
	s_or_b32 s4, vcc_lo, s4
	s_andn2_b32 exec_lo, exec_lo, s4
	s_cbranch_execnz .LBB1_143
; %bb.144:
	s_or_b32 exec_lo, exec_lo, s4
	s_mov_b32 s4, exec_lo
	v_cmpx_ne_u64_e32 0, v[2:3]
	s_xor_b32 s14, exec_lo, s4
	s_cbranch_execz .LBB1_230
; %bb.145:
	v_sub_nc_u32_e32 v0, v0, v2
	v_and_b32_e32 v39, 2, v9
	v_mov_b32_e32 v14, 0
	v_and_b32_e32 v9, -3, v9
	v_mov_b32_e32 v15, 2
	v_ashrrev_i32_e32 v1, 31, v0
	v_mov_b32_e32 v16, 1
	s_mov_b32 s16, 0
	s_mov_b32 s15, 0
	s_branch .LBB1_147
.LBB1_146:                              ;   in Loop: Header=BB1_147 Depth=1
	s_or_b32 exec_lo, exec_lo, s12
	v_sub_co_u32 v0, vcc_lo, v0, v33
	v_sub_co_ci_u32_e64 v1, null, v1, v34, vcc_lo
	v_add_co_u32 v2, s4, v2, v33
	v_add_co_ci_u32_e64 v3, null, v3, v34, s4
	v_cmp_eq_u64_e32 vcc_lo, 0, v[0:1]
	s_or_b32 s15, vcc_lo, s15
	s_andn2_b32 exec_lo, exec_lo, s15
	s_cbranch_execz .LBB1_229
.LBB1_147:                              ; =>This Loop Header: Depth=1
                                        ;     Child Loop BB1_150 Depth 2
                                        ;     Child Loop BB1_158 Depth 2
	;; [unrolled: 1-line block ×11, first 2 shown]
	v_cmp_gt_u64_e32 vcc_lo, 56, v[0:1]
	s_mov_b32 s5, exec_lo
	v_cndmask_b32_e32 v34, 0, v1, vcc_lo
	v_cndmask_b32_e32 v33, 56, v0, vcc_lo
	v_add_co_u32 v19, vcc_lo, v2, 8
	v_add_co_ci_u32_e64 v20, null, 0, v3, vcc_lo
	v_cmpx_gt_u64_e32 8, v[0:1]
	s_xor_b32 s5, exec_lo, s5
	s_cbranch_execz .LBB1_153
; %bb.148:                              ;   in Loop: Header=BB1_147 Depth=1
	v_mov_b32_e32 v11, 0
	v_mov_b32_e32 v12, 0
	s_mov_b32 s12, exec_lo
	v_cmpx_ne_u64_e32 0, v[0:1]
	s_cbranch_execz .LBB1_152
; %bb.149:                              ;   in Loop: Header=BB1_147 Depth=1
	v_lshlrev_b64 v[17:18], 3, v[33:34]
	v_mov_b32_e32 v11, 0
	v_mov_b32_e32 v19, v3
	;; [unrolled: 1-line block ×4, first 2 shown]
	s_mov_b64 s[10:11], 0
	s_mov_b32 s13, 0
	.p2align	6
.LBB1_150:                              ;   Parent Loop BB1_147 Depth=1
                                        ; =>  This Inner Loop Header: Depth=2
	global_load_ubyte v13, v[18:19], off
	v_mov_b32_e32 v21, s16
	v_add_co_u32 v18, vcc_lo, v18, 1
	v_add_co_ci_u32_e64 v19, null, 0, v19, vcc_lo
	s_waitcnt vmcnt(0)
	v_and_b32_e32 v20, 0xffff, v13
	v_lshlrev_b64 v[20:21], s10, v[20:21]
	s_add_u32 s10, s10, 8
	s_addc_u32 s11, s11, 0
	v_cmp_eq_u32_e64 s4, s10, v17
	v_or_b32_e32 v12, v21, v12
	v_or_b32_e32 v11, v20, v11
	s_or_b32 s13, s4, s13
	s_andn2_b32 exec_lo, exec_lo, s13
	s_cbranch_execnz .LBB1_150
; %bb.151:                              ;   in Loop: Header=BB1_147 Depth=1
	s_or_b32 exec_lo, exec_lo, s13
.LBB1_152:                              ;   in Loop: Header=BB1_147 Depth=1
	s_or_b32 exec_lo, exec_lo, s12
	v_mov_b32_e32 v20, v3
	v_mov_b32_e32 v19, v2
.LBB1_153:                              ;   in Loop: Header=BB1_147 Depth=1
	s_or_saveexec_b32 s4, s5
	v_mov_b32_e32 v13, 0
	s_xor_b32 exec_lo, exec_lo, s4
	s_cbranch_execz .LBB1_155
; %bb.154:                              ;   in Loop: Header=BB1_147 Depth=1
	global_load_dwordx2 v[11:12], v[2:3], off
	v_add_nc_u32_e32 v13, -8, v33
.LBB1_155:                              ;   in Loop: Header=BB1_147 Depth=1
	s_or_b32 exec_lo, exec_lo, s4
	v_add_co_u32 v21, s4, v19, 8
	v_add_co_ci_u32_e64 v22, null, 0, v20, s4
                                        ; implicit-def: $vgpr17_vgpr18
	s_mov_b32 s4, exec_lo
	v_cmpx_gt_u32_e32 8, v13
	s_xor_b32 s12, exec_lo, s4
	s_cbranch_execz .LBB1_161
; %bb.156:                              ;   in Loop: Header=BB1_147 Depth=1
	v_mov_b32_e32 v17, 0
	v_mov_b32_e32 v18, 0
	s_mov_b32 s13, exec_lo
	v_cmpx_ne_u32_e32 0, v13
	s_cbranch_execz .LBB1_160
; %bb.157:                              ;   in Loop: Header=BB1_147 Depth=1
	v_mov_b32_e32 v17, 0
	v_mov_b32_e32 v18, 0
	s_mov_b64 s[4:5], 0
	s_mov_b32 s17, 0
	s_mov_b64 s[10:11], 0
	.p2align	6
.LBB1_158:                              ;   Parent Loop BB1_147 Depth=1
                                        ; =>  This Inner Loop Header: Depth=2
	v_add_co_u32 v21, vcc_lo, v19, s10
	v_add_co_ci_u32_e64 v22, null, s11, v20, vcc_lo
	s_add_u32 s10, s10, 1
	s_addc_u32 s11, s11, 0
	v_cmp_eq_u32_e32 vcc_lo, s10, v13
	global_load_ubyte v21, v[21:22], off
	v_mov_b32_e32 v22, s16
	s_waitcnt vmcnt(0)
	v_and_b32_e32 v21, 0xffff, v21
	v_lshlrev_b64 v[21:22], s4, v[21:22]
	s_add_u32 s4, s4, 8
	s_addc_u32 s5, s5, 0
	s_or_b32 s17, vcc_lo, s17
	v_or_b32_e32 v18, v22, v18
	v_or_b32_e32 v17, v21, v17
	s_andn2_b32 exec_lo, exec_lo, s17
	s_cbranch_execnz .LBB1_158
; %bb.159:                              ;   in Loop: Header=BB1_147 Depth=1
	s_or_b32 exec_lo, exec_lo, s17
.LBB1_160:                              ;   in Loop: Header=BB1_147 Depth=1
	s_or_b32 exec_lo, exec_lo, s13
	v_mov_b32_e32 v22, v20
	v_mov_b32_e32 v21, v19
                                        ; implicit-def: $vgpr13
.LBB1_161:                              ;   in Loop: Header=BB1_147 Depth=1
	s_or_saveexec_b32 s4, s12
	v_mov_b32_e32 v25, 0
	s_xor_b32 exec_lo, exec_lo, s4
	s_cbranch_execz .LBB1_163
; %bb.162:                              ;   in Loop: Header=BB1_147 Depth=1
	global_load_dwordx2 v[17:18], v[19:20], off
	v_add_nc_u32_e32 v25, -8, v13
.LBB1_163:                              ;   in Loop: Header=BB1_147 Depth=1
	s_or_b32 exec_lo, exec_lo, s4
	v_add_co_u32 v23, s4, v21, 8
	v_add_co_ci_u32_e64 v24, null, 0, v22, s4
	s_mov_b32 s4, exec_lo
	v_cmpx_gt_u32_e32 8, v25
	s_xor_b32 s12, exec_lo, s4
	s_cbranch_execz .LBB1_169
; %bb.164:                              ;   in Loop: Header=BB1_147 Depth=1
	v_mov_b32_e32 v19, 0
	v_mov_b32_e32 v20, 0
	s_mov_b32 s13, exec_lo
	v_cmpx_ne_u32_e32 0, v25
	s_cbranch_execz .LBB1_168
; %bb.165:                              ;   in Loop: Header=BB1_147 Depth=1
	v_mov_b32_e32 v19, 0
	v_mov_b32_e32 v20, 0
	s_mov_b64 s[4:5], 0
	s_mov_b32 s17, 0
	s_mov_b64 s[10:11], 0
	.p2align	6
.LBB1_166:                              ;   Parent Loop BB1_147 Depth=1
                                        ; =>  This Inner Loop Header: Depth=2
	v_add_co_u32 v23, vcc_lo, v21, s10
	v_add_co_ci_u32_e64 v24, null, s11, v22, vcc_lo
	s_add_u32 s10, s10, 1
	s_addc_u32 s11, s11, 0
	v_cmp_eq_u32_e32 vcc_lo, s10, v25
	global_load_ubyte v13, v[23:24], off
	v_mov_b32_e32 v24, s16
	s_waitcnt vmcnt(0)
	v_and_b32_e32 v23, 0xffff, v13
	v_lshlrev_b64 v[23:24], s4, v[23:24]
	s_add_u32 s4, s4, 8
	s_addc_u32 s5, s5, 0
	s_or_b32 s17, vcc_lo, s17
	v_or_b32_e32 v20, v24, v20
	v_or_b32_e32 v19, v23, v19
	s_andn2_b32 exec_lo, exec_lo, s17
	s_cbranch_execnz .LBB1_166
; %bb.167:                              ;   in Loop: Header=BB1_147 Depth=1
	s_or_b32 exec_lo, exec_lo, s17
.LBB1_168:                              ;   in Loop: Header=BB1_147 Depth=1
	s_or_b32 exec_lo, exec_lo, s13
	v_mov_b32_e32 v24, v22
	v_mov_b32_e32 v23, v21
                                        ; implicit-def: $vgpr25
.LBB1_169:                              ;   in Loop: Header=BB1_147 Depth=1
	s_or_saveexec_b32 s4, s12
	v_mov_b32_e32 v13, 0
	s_xor_b32 exec_lo, exec_lo, s4
	s_cbranch_execz .LBB1_171
; %bb.170:                              ;   in Loop: Header=BB1_147 Depth=1
	global_load_dwordx2 v[19:20], v[21:22], off
	v_add_nc_u32_e32 v13, -8, v25
.LBB1_171:                              ;   in Loop: Header=BB1_147 Depth=1
	s_or_b32 exec_lo, exec_lo, s4
	v_add_co_u32 v25, s4, v23, 8
	v_add_co_ci_u32_e64 v26, null, 0, v24, s4
                                        ; implicit-def: $vgpr21_vgpr22
	s_mov_b32 s4, exec_lo
	v_cmpx_gt_u32_e32 8, v13
	s_xor_b32 s12, exec_lo, s4
	s_cbranch_execz .LBB1_177
; %bb.172:                              ;   in Loop: Header=BB1_147 Depth=1
	v_mov_b32_e32 v21, 0
	v_mov_b32_e32 v22, 0
	s_mov_b32 s13, exec_lo
	v_cmpx_ne_u32_e32 0, v13
	s_cbranch_execz .LBB1_176
; %bb.173:                              ;   in Loop: Header=BB1_147 Depth=1
	v_mov_b32_e32 v21, 0
	v_mov_b32_e32 v22, 0
	s_mov_b64 s[4:5], 0
	s_mov_b32 s17, 0
	s_mov_b64 s[10:11], 0
	.p2align	6
.LBB1_174:                              ;   Parent Loop BB1_147 Depth=1
                                        ; =>  This Inner Loop Header: Depth=2
	v_add_co_u32 v25, vcc_lo, v23, s10
	v_add_co_ci_u32_e64 v26, null, s11, v24, vcc_lo
	s_add_u32 s10, s10, 1
	s_addc_u32 s11, s11, 0
	v_cmp_eq_u32_e32 vcc_lo, s10, v13
	global_load_ubyte v25, v[25:26], off
	v_mov_b32_e32 v26, s16
	s_waitcnt vmcnt(0)
	v_and_b32_e32 v25, 0xffff, v25
	v_lshlrev_b64 v[25:26], s4, v[25:26]
	s_add_u32 s4, s4, 8
	s_addc_u32 s5, s5, 0
	s_or_b32 s17, vcc_lo, s17
	v_or_b32_e32 v22, v26, v22
	v_or_b32_e32 v21, v25, v21
	s_andn2_b32 exec_lo, exec_lo, s17
	s_cbranch_execnz .LBB1_174
; %bb.175:                              ;   in Loop: Header=BB1_147 Depth=1
	s_or_b32 exec_lo, exec_lo, s17
.LBB1_176:                              ;   in Loop: Header=BB1_147 Depth=1
	s_or_b32 exec_lo, exec_lo, s13
	v_mov_b32_e32 v26, v24
	v_mov_b32_e32 v25, v23
                                        ; implicit-def: $vgpr13
.LBB1_177:                              ;   in Loop: Header=BB1_147 Depth=1
	s_or_saveexec_b32 s4, s12
	v_mov_b32_e32 v29, 0
	s_xor_b32 exec_lo, exec_lo, s4
	s_cbranch_execz .LBB1_179
; %bb.178:                              ;   in Loop: Header=BB1_147 Depth=1
	global_load_dwordx2 v[21:22], v[23:24], off
	v_add_nc_u32_e32 v29, -8, v13
.LBB1_179:                              ;   in Loop: Header=BB1_147 Depth=1
	s_or_b32 exec_lo, exec_lo, s4
	v_add_co_u32 v27, s4, v25, 8
	v_add_co_ci_u32_e64 v28, null, 0, v26, s4
	s_mov_b32 s4, exec_lo
	v_cmpx_gt_u32_e32 8, v29
	s_xor_b32 s12, exec_lo, s4
	s_cbranch_execz .LBB1_185
; %bb.180:                              ;   in Loop: Header=BB1_147 Depth=1
	v_mov_b32_e32 v23, 0
	v_mov_b32_e32 v24, 0
	s_mov_b32 s13, exec_lo
	v_cmpx_ne_u32_e32 0, v29
	s_cbranch_execz .LBB1_184
; %bb.181:                              ;   in Loop: Header=BB1_147 Depth=1
	v_mov_b32_e32 v23, 0
	v_mov_b32_e32 v24, 0
	s_mov_b64 s[4:5], 0
	s_mov_b32 s17, 0
	s_mov_b64 s[10:11], 0
	.p2align	6
.LBB1_182:                              ;   Parent Loop BB1_147 Depth=1
                                        ; =>  This Inner Loop Header: Depth=2
	v_add_co_u32 v27, vcc_lo, v25, s10
	v_add_co_ci_u32_e64 v28, null, s11, v26, vcc_lo
	s_add_u32 s10, s10, 1
	s_addc_u32 s11, s11, 0
	v_cmp_eq_u32_e32 vcc_lo, s10, v29
	global_load_ubyte v13, v[27:28], off
	v_mov_b32_e32 v28, s16
	s_waitcnt vmcnt(0)
	v_and_b32_e32 v27, 0xffff, v13
	v_lshlrev_b64 v[27:28], s4, v[27:28]
	s_add_u32 s4, s4, 8
	s_addc_u32 s5, s5, 0
	s_or_b32 s17, vcc_lo, s17
	v_or_b32_e32 v24, v28, v24
	v_or_b32_e32 v23, v27, v23
	s_andn2_b32 exec_lo, exec_lo, s17
	s_cbranch_execnz .LBB1_182
; %bb.183:                              ;   in Loop: Header=BB1_147 Depth=1
	s_or_b32 exec_lo, exec_lo, s17
.LBB1_184:                              ;   in Loop: Header=BB1_147 Depth=1
	s_or_b32 exec_lo, exec_lo, s13
	v_mov_b32_e32 v28, v26
	v_mov_b32_e32 v27, v25
                                        ; implicit-def: $vgpr29
.LBB1_185:                              ;   in Loop: Header=BB1_147 Depth=1
	s_or_saveexec_b32 s4, s12
	v_mov_b32_e32 v13, 0
	s_xor_b32 exec_lo, exec_lo, s4
	s_cbranch_execz .LBB1_187
; %bb.186:                              ;   in Loop: Header=BB1_147 Depth=1
	global_load_dwordx2 v[23:24], v[25:26], off
	v_add_nc_u32_e32 v13, -8, v29
.LBB1_187:                              ;   in Loop: Header=BB1_147 Depth=1
	s_or_b32 exec_lo, exec_lo, s4
	v_add_co_u32 v29, s4, v27, 8
	v_add_co_ci_u32_e64 v30, null, 0, v28, s4
                                        ; implicit-def: $vgpr25_vgpr26
	s_mov_b32 s4, exec_lo
	v_cmpx_gt_u32_e32 8, v13
	s_xor_b32 s12, exec_lo, s4
	s_cbranch_execz .LBB1_193
; %bb.188:                              ;   in Loop: Header=BB1_147 Depth=1
	v_mov_b32_e32 v25, 0
	v_mov_b32_e32 v26, 0
	s_mov_b32 s13, exec_lo
	v_cmpx_ne_u32_e32 0, v13
	s_cbranch_execz .LBB1_192
; %bb.189:                              ;   in Loop: Header=BB1_147 Depth=1
	v_mov_b32_e32 v25, 0
	v_mov_b32_e32 v26, 0
	s_mov_b64 s[4:5], 0
	s_mov_b32 s17, 0
	s_mov_b64 s[10:11], 0
	.p2align	6
.LBB1_190:                              ;   Parent Loop BB1_147 Depth=1
                                        ; =>  This Inner Loop Header: Depth=2
	v_add_co_u32 v29, vcc_lo, v27, s10
	v_add_co_ci_u32_e64 v30, null, s11, v28, vcc_lo
	s_add_u32 s10, s10, 1
	s_addc_u32 s11, s11, 0
	v_cmp_eq_u32_e32 vcc_lo, s10, v13
	global_load_ubyte v29, v[29:30], off
	v_mov_b32_e32 v30, s16
	s_waitcnt vmcnt(0)
	v_and_b32_e32 v29, 0xffff, v29
	v_lshlrev_b64 v[29:30], s4, v[29:30]
	s_add_u32 s4, s4, 8
	s_addc_u32 s5, s5, 0
	s_or_b32 s17, vcc_lo, s17
	v_or_b32_e32 v26, v30, v26
	v_or_b32_e32 v25, v29, v25
	s_andn2_b32 exec_lo, exec_lo, s17
	s_cbranch_execnz .LBB1_190
; %bb.191:                              ;   in Loop: Header=BB1_147 Depth=1
	s_or_b32 exec_lo, exec_lo, s17
.LBB1_192:                              ;   in Loop: Header=BB1_147 Depth=1
	s_or_b32 exec_lo, exec_lo, s13
	v_mov_b32_e32 v30, v28
	v_mov_b32_e32 v29, v27
                                        ; implicit-def: $vgpr13
.LBB1_193:                              ;   in Loop: Header=BB1_147 Depth=1
	s_or_saveexec_b32 s4, s12
	v_mov_b32_e32 v31, 0
	s_xor_b32 exec_lo, exec_lo, s4
	s_cbranch_execz .LBB1_195
; %bb.194:                              ;   in Loop: Header=BB1_147 Depth=1
	global_load_dwordx2 v[25:26], v[27:28], off
	v_add_nc_u32_e32 v31, -8, v13
.LBB1_195:                              ;   in Loop: Header=BB1_147 Depth=1
	s_or_b32 exec_lo, exec_lo, s4
	s_mov_b32 s4, exec_lo
	v_cmpx_gt_u32_e32 8, v31
	s_xor_b32 s10, exec_lo, s4
	s_cbranch_execz .LBB1_201
; %bb.196:                              ;   in Loop: Header=BB1_147 Depth=1
	v_mov_b32_e32 v27, 0
	v_mov_b32_e32 v28, 0
	s_mov_b32 s11, exec_lo
	v_cmpx_ne_u32_e32 0, v31
	s_cbranch_execz .LBB1_200
; %bb.197:                              ;   in Loop: Header=BB1_147 Depth=1
	v_mov_b32_e32 v27, 0
	v_mov_b32_e32 v28, 0
	s_mov_b64 s[4:5], 0
	s_mov_b32 s12, 0
	.p2align	6
.LBB1_198:                              ;   Parent Loop BB1_147 Depth=1
                                        ; =>  This Inner Loop Header: Depth=2
	global_load_ubyte v13, v[29:30], off
	v_mov_b32_e32 v36, s16
	v_add_nc_u32_e32 v31, -1, v31
	v_add_co_u32 v29, vcc_lo, v29, 1
	v_add_co_ci_u32_e64 v30, null, 0, v30, vcc_lo
	v_cmp_eq_u32_e32 vcc_lo, 0, v31
	s_waitcnt vmcnt(0)
	v_and_b32_e32 v35, 0xffff, v13
	v_lshlrev_b64 v[35:36], s4, v[35:36]
	s_add_u32 s4, s4, 8
	s_addc_u32 s5, s5, 0
	s_or_b32 s12, vcc_lo, s12
	v_or_b32_e32 v28, v36, v28
	v_or_b32_e32 v27, v35, v27
	s_andn2_b32 exec_lo, exec_lo, s12
	s_cbranch_execnz .LBB1_198
; %bb.199:                              ;   in Loop: Header=BB1_147 Depth=1
	s_or_b32 exec_lo, exec_lo, s12
.LBB1_200:                              ;   in Loop: Header=BB1_147 Depth=1
	s_or_b32 exec_lo, exec_lo, s11
                                        ; implicit-def: $vgpr29_vgpr30
.LBB1_201:                              ;   in Loop: Header=BB1_147 Depth=1
	s_andn2_saveexec_b32 s4, s10
	s_cbranch_execz .LBB1_203
; %bb.202:                              ;   in Loop: Header=BB1_147 Depth=1
	global_load_dwordx2 v[27:28], v[29:30], off
.LBB1_203:                              ;   in Loop: Header=BB1_147 Depth=1
	s_or_b32 exec_lo, exec_lo, s4
	v_readfirstlane_b32 s4, v37
	v_mov_b32_e32 v35, 0
	v_mov_b32_e32 v36, 0
	v_cmp_eq_u32_e64 s4, s4, v37
	s_and_saveexec_b32 s5, s4
	s_cbranch_execz .LBB1_209
; %bb.204:                              ;   in Loop: Header=BB1_147 Depth=1
	global_load_dwordx2 v[31:32], v14, s[6:7] offset:24 glc dlc
	s_waitcnt vmcnt(0)
	buffer_gl1_inv
	buffer_gl0_inv
	s_clause 0x1
	global_load_dwordx2 v[29:30], v14, s[6:7] offset:40
	global_load_dwordx2 v[35:36], v14, s[6:7]
	s_mov_b32 s10, exec_lo
	s_waitcnt vmcnt(1)
	v_and_b32_e32 v13, v30, v32
	v_and_b32_e32 v29, v29, v31
	v_mul_lo_u32 v13, v13, 24
	v_mul_hi_u32 v30, v29, 24
	v_mul_lo_u32 v29, v29, 24
	v_add_nc_u32_e32 v13, v30, v13
	s_waitcnt vmcnt(0)
	v_add_co_u32 v29, vcc_lo, v35, v29
	v_add_co_ci_u32_e64 v30, null, v36, v13, vcc_lo
	global_load_dwordx2 v[29:30], v[29:30], off glc dlc
	s_waitcnt vmcnt(0)
	global_atomic_cmpswap_x2 v[35:36], v14, v[29:32], s[6:7] offset:24 glc
	s_waitcnt vmcnt(0)
	buffer_gl1_inv
	buffer_gl0_inv
	v_cmpx_ne_u64_e64 v[35:36], v[31:32]
	s_cbranch_execz .LBB1_208
; %bb.205:                              ;   in Loop: Header=BB1_147 Depth=1
	s_mov_b32 s11, 0
	.p2align	6
.LBB1_206:                              ;   Parent Loop BB1_147 Depth=1
                                        ; =>  This Inner Loop Header: Depth=2
	s_sleep 1
	s_clause 0x1
	global_load_dwordx2 v[29:30], v14, s[6:7] offset:40
	global_load_dwordx2 v[48:49], v14, s[6:7]
	v_mov_b32_e32 v31, v35
	v_mov_b32_e32 v32, v36
	s_waitcnt vmcnt(1)
	v_and_b32_e32 v13, v29, v31
	v_and_b32_e32 v29, v30, v32
	s_waitcnt vmcnt(0)
	v_mad_u64_u32 v[35:36], null, v13, 24, v[48:49]
	v_mov_b32_e32 v13, v36
	v_mad_u64_u32 v[29:30], null, v29, 24, v[13:14]
	v_mov_b32_e32 v36, v29
	global_load_dwordx2 v[29:30], v[35:36], off glc dlc
	s_waitcnt vmcnt(0)
	global_atomic_cmpswap_x2 v[35:36], v14, v[29:32], s[6:7] offset:24 glc
	s_waitcnt vmcnt(0)
	buffer_gl1_inv
	buffer_gl0_inv
	v_cmp_eq_u64_e32 vcc_lo, v[35:36], v[31:32]
	s_or_b32 s11, vcc_lo, s11
	s_andn2_b32 exec_lo, exec_lo, s11
	s_cbranch_execnz .LBB1_206
; %bb.207:                              ;   in Loop: Header=BB1_147 Depth=1
	s_or_b32 exec_lo, exec_lo, s11
.LBB1_208:                              ;   in Loop: Header=BB1_147 Depth=1
	s_or_b32 exec_lo, exec_lo, s10
.LBB1_209:                              ;   in Loop: Header=BB1_147 Depth=1
	s_or_b32 exec_lo, exec_lo, s5
	s_clause 0x1
	global_load_dwordx2 v[48:49], v14, s[6:7] offset:40
	global_load_dwordx4 v[29:32], v14, s[6:7]
	v_readfirstlane_b32 s11, v36
	v_readfirstlane_b32 s10, v35
	s_mov_b32 s5, exec_lo
	s_waitcnt vmcnt(1)
	v_readfirstlane_b32 s12, v48
	v_readfirstlane_b32 s13, v49
	s_and_b64 s[12:13], s[12:13], s[10:11]
	s_mul_i32 s17, s13, 24
	s_mul_hi_u32 s18, s12, 24
	s_mul_i32 s19, s12, 24
	s_add_i32 s18, s18, s17
	s_waitcnt vmcnt(0)
	v_add_co_u32 v35, vcc_lo, v29, s19
	v_add_co_ci_u32_e64 v36, null, s18, v30, vcc_lo
	s_and_saveexec_b32 s17, s4
	s_cbranch_execz .LBB1_211
; %bb.210:                              ;   in Loop: Header=BB1_147 Depth=1
	v_mov_b32_e32 v13, s5
	global_store_dwordx4 v[35:36], v[13:16], off offset:8
.LBB1_211:                              ;   in Loop: Header=BB1_147 Depth=1
	s_or_b32 exec_lo, exec_lo, s17
	v_cmp_gt_u64_e32 vcc_lo, 57, v[0:1]
	s_lshl_b64 s[12:13], s[12:13], 12
	v_and_b32_e32 v9, 0xffffff1f, v9
	v_lshl_add_u32 v48, v33, 2, 28
	v_cndmask_b32_e32 v13, 0, v39, vcc_lo
	v_add_co_u32 v31, vcc_lo, v31, s12
	v_add_co_ci_u32_e64 v32, null, s13, v32, vcc_lo
	v_or_b32_e32 v9, v9, v13
	v_readfirstlane_b32 s12, v31
	v_readfirstlane_b32 s13, v32
	v_and_or_b32 v9, 0x1e0, v48, v9
	global_store_dwordx4 v38, v[17:20], s[12:13] offset:16
	global_store_dwordx4 v38, v[21:24], s[12:13] offset:32
	global_store_dwordx4 v38, v[9:12], s[12:13]
	global_store_dwordx4 v38, v[25:28], s[12:13] offset:48
	s_and_saveexec_b32 s5, s4
	s_cbranch_execz .LBB1_219
; %bb.212:                              ;   in Loop: Header=BB1_147 Depth=1
	s_clause 0x1
	global_load_dwordx2 v[21:22], v14, s[6:7] offset:32 glc dlc
	global_load_dwordx2 v[9:10], v14, s[6:7] offset:40
	v_mov_b32_e32 v19, s10
	v_mov_b32_e32 v20, s11
	s_waitcnt vmcnt(0)
	v_readfirstlane_b32 s12, v9
	v_readfirstlane_b32 s13, v10
	s_and_b64 s[12:13], s[12:13], s[10:11]
	s_mul_i32 s13, s13, 24
	s_mul_hi_u32 s17, s12, 24
	s_mul_i32 s12, s12, 24
	s_add_i32 s17, s17, s13
	v_add_co_u32 v17, vcc_lo, v29, s12
	v_add_co_ci_u32_e64 v18, null, s17, v30, vcc_lo
	s_mov_b32 s12, exec_lo
	global_store_dwordx2 v[17:18], v[21:22], off
	s_waitcnt_vscnt null, 0x0
	global_atomic_cmpswap_x2 v[11:12], v14, v[19:22], s[6:7] offset:32 glc
	s_waitcnt vmcnt(0)
	v_cmpx_ne_u64_e64 v[11:12], v[21:22]
	s_cbranch_execz .LBB1_215
; %bb.213:                              ;   in Loop: Header=BB1_147 Depth=1
	s_mov_b32 s13, 0
.LBB1_214:                              ;   Parent Loop BB1_147 Depth=1
                                        ; =>  This Inner Loop Header: Depth=2
	v_mov_b32_e32 v9, s10
	v_mov_b32_e32 v10, s11
	s_sleep 1
	global_store_dwordx2 v[17:18], v[11:12], off
	s_waitcnt_vscnt null, 0x0
	global_atomic_cmpswap_x2 v[9:10], v14, v[9:12], s[6:7] offset:32 glc
	s_waitcnt vmcnt(0)
	v_cmp_eq_u64_e32 vcc_lo, v[9:10], v[11:12]
	v_mov_b32_e32 v12, v10
	v_mov_b32_e32 v11, v9
	s_or_b32 s13, vcc_lo, s13
	s_andn2_b32 exec_lo, exec_lo, s13
	s_cbranch_execnz .LBB1_214
.LBB1_215:                              ;   in Loop: Header=BB1_147 Depth=1
	s_or_b32 exec_lo, exec_lo, s12
	global_load_dwordx2 v[9:10], v14, s[6:7] offset:16
	s_mov_b32 s13, exec_lo
	s_mov_b32 s12, exec_lo
	v_mbcnt_lo_u32_b32 v11, s13, 0
	v_cmpx_eq_u32_e32 0, v11
	s_cbranch_execz .LBB1_217
; %bb.216:                              ;   in Loop: Header=BB1_147 Depth=1
	s_bcnt1_i32_b32 s13, s13
	v_mov_b32_e32 v13, s13
	s_waitcnt vmcnt(0)
	global_atomic_add_x2 v[9:10], v[13:14], off offset:8
.LBB1_217:                              ;   in Loop: Header=BB1_147 Depth=1
	s_or_b32 exec_lo, exec_lo, s12
	s_waitcnt vmcnt(0)
	global_load_dwordx2 v[11:12], v[9:10], off offset:16
	s_waitcnt vmcnt(0)
	v_cmp_eq_u64_e32 vcc_lo, 0, v[11:12]
	s_cbranch_vccnz .LBB1_219
; %bb.218:                              ;   in Loop: Header=BB1_147 Depth=1
	global_load_dword v13, v[9:10], off offset:24
	s_waitcnt vmcnt(0)
	v_readfirstlane_b32 s12, v13
	s_waitcnt_vscnt null, 0x0
	global_store_dwordx2 v[11:12], v[13:14], off
	s_and_b32 m0, s12, 0x7fffff
	s_sendmsg sendmsg(MSG_INTERRUPT)
.LBB1_219:                              ;   in Loop: Header=BB1_147 Depth=1
	s_or_b32 exec_lo, exec_lo, s5
	v_add_co_u32 v9, vcc_lo, v31, v38
	v_add_co_ci_u32_e64 v10, null, 0, v32, vcc_lo
	s_branch .LBB1_223
	.p2align	6
.LBB1_220:                              ;   in Loop: Header=BB1_223 Depth=2
	s_or_b32 exec_lo, exec_lo, s5
	v_readfirstlane_b32 s5, v11
	s_cmp_eq_u32 s5, 0
	s_cbranch_scc1 .LBB1_222
; %bb.221:                              ;   in Loop: Header=BB1_223 Depth=2
	s_sleep 1
	s_cbranch_execnz .LBB1_223
	s_branch .LBB1_225
	.p2align	6
.LBB1_222:                              ;   in Loop: Header=BB1_147 Depth=1
	s_branch .LBB1_225
.LBB1_223:                              ;   Parent Loop BB1_147 Depth=1
                                        ; =>  This Inner Loop Header: Depth=2
	v_mov_b32_e32 v11, 1
	s_and_saveexec_b32 s5, s4
	s_cbranch_execz .LBB1_220
; %bb.224:                              ;   in Loop: Header=BB1_223 Depth=2
	global_load_dword v11, v[35:36], off offset:20 glc dlc
	s_waitcnt vmcnt(0)
	buffer_gl1_inv
	buffer_gl0_inv
	v_and_b32_e32 v11, 1, v11
	s_branch .LBB1_220
.LBB1_225:                              ;   in Loop: Header=BB1_147 Depth=1
	global_load_dwordx2 v[9:10], v[9:10], off
	s_and_saveexec_b32 s12, s4
	s_cbranch_execz .LBB1_146
; %bb.226:                              ;   in Loop: Header=BB1_147 Depth=1
	s_clause 0x2
	global_load_dwordx2 v[11:12], v14, s[6:7] offset:40
	global_load_dwordx2 v[21:22], v14, s[6:7] offset:24 glc dlc
	global_load_dwordx2 v[17:18], v14, s[6:7]
	s_waitcnt vmcnt(2)
	v_readfirstlane_b32 s18, v11
	v_readfirstlane_b32 s19, v12
	s_add_u32 s13, s18, 1
	s_addc_u32 s17, s19, 0
	s_add_u32 s4, s13, s10
	s_addc_u32 s5, s17, s11
	s_cmp_eq_u64 s[4:5], 0
	s_cselect_b32 s5, s17, s5
	s_cselect_b32 s4, s13, s4
	v_mov_b32_e32 v20, s5
	s_and_b64 s[10:11], s[4:5], s[18:19]
	v_mov_b32_e32 v19, s4
	s_mul_i32 s11, s11, 24
	s_mul_hi_u32 s13, s10, 24
	s_mul_i32 s10, s10, 24
	s_add_i32 s13, s13, s11
	s_waitcnt vmcnt(0)
	v_add_co_u32 v11, vcc_lo, v17, s10
	v_add_co_ci_u32_e64 v12, null, s13, v18, vcc_lo
	global_store_dwordx2 v[11:12], v[21:22], off
	s_waitcnt_vscnt null, 0x0
	global_atomic_cmpswap_x2 v[19:20], v14, v[19:22], s[6:7] offset:24 glc
	s_waitcnt vmcnt(0)
	v_cmp_ne_u64_e32 vcc_lo, v[19:20], v[21:22]
	s_and_b32 exec_lo, exec_lo, vcc_lo
	s_cbranch_execz .LBB1_146
; %bb.227:                              ;   in Loop: Header=BB1_147 Depth=1
	s_mov_b32 s10, 0
.LBB1_228:                              ;   Parent Loop BB1_147 Depth=1
                                        ; =>  This Inner Loop Header: Depth=2
	v_mov_b32_e32 v17, s4
	v_mov_b32_e32 v18, s5
	s_sleep 1
	global_store_dwordx2 v[11:12], v[19:20], off
	s_waitcnt_vscnt null, 0x0
	global_atomic_cmpswap_x2 v[17:18], v14, v[17:20], s[6:7] offset:24 glc
	s_waitcnt vmcnt(0)
	v_cmp_eq_u64_e32 vcc_lo, v[17:18], v[19:20]
	v_mov_b32_e32 v20, v18
	v_mov_b32_e32 v19, v17
	s_or_b32 s10, vcc_lo, s10
	s_andn2_b32 exec_lo, exec_lo, s10
	s_cbranch_execnz .LBB1_228
	s_branch .LBB1_146
.LBB1_229:
	s_or_b32 exec_lo, exec_lo, s15
.LBB1_230:
	s_andn2_saveexec_b32 s14, s14
	s_cbranch_execz .LBB1_258
; %bb.231:
	v_readfirstlane_b32 s4, v37
	v_mov_b32_e32 v12, 0
	v_mov_b32_e32 v13, 0
	v_cmp_eq_u32_e64 s4, s4, v37
	s_and_saveexec_b32 s5, s4
	s_cbranch_execz .LBB1_237
; %bb.232:
	v_mov_b32_e32 v0, 0
	s_mov_b32 s10, exec_lo
	global_load_dwordx2 v[14:15], v0, s[6:7] offset:24 glc dlc
	s_waitcnt vmcnt(0)
	buffer_gl1_inv
	buffer_gl0_inv
	s_clause 0x1
	global_load_dwordx2 v[1:2], v0, s[6:7] offset:40
	global_load_dwordx2 v[11:12], v0, s[6:7]
	s_waitcnt vmcnt(1)
	v_and_b32_e32 v2, v2, v15
	v_and_b32_e32 v1, v1, v14
	v_mul_lo_u32 v2, v2, 24
	v_mul_hi_u32 v3, v1, 24
	v_mul_lo_u32 v1, v1, 24
	v_add_nc_u32_e32 v2, v3, v2
	s_waitcnt vmcnt(0)
	v_add_co_u32 v1, vcc_lo, v11, v1
	v_add_co_ci_u32_e64 v2, null, v12, v2, vcc_lo
	global_load_dwordx2 v[12:13], v[1:2], off glc dlc
	s_waitcnt vmcnt(0)
	global_atomic_cmpswap_x2 v[12:13], v0, v[12:15], s[6:7] offset:24 glc
	s_waitcnt vmcnt(0)
	buffer_gl1_inv
	buffer_gl0_inv
	v_cmpx_ne_u64_e64 v[12:13], v[14:15]
	s_cbranch_execz .LBB1_236
; %bb.233:
	s_mov_b32 s11, 0
	.p2align	6
.LBB1_234:                              ; =>This Inner Loop Header: Depth=1
	s_sleep 1
	s_clause 0x1
	global_load_dwordx2 v[1:2], v0, s[6:7] offset:40
	global_load_dwordx2 v[16:17], v0, s[6:7]
	v_mov_b32_e32 v15, v13
	v_mov_b32_e32 v14, v12
	s_waitcnt vmcnt(1)
	v_and_b32_e32 v1, v1, v14
	v_and_b32_e32 v2, v2, v15
	s_waitcnt vmcnt(0)
	v_mad_u64_u32 v[11:12], null, v1, 24, v[16:17]
	v_mov_b32_e32 v1, v12
	v_mad_u64_u32 v[1:2], null, v2, 24, v[1:2]
	v_mov_b32_e32 v12, v1
	global_load_dwordx2 v[12:13], v[11:12], off glc dlc
	s_waitcnt vmcnt(0)
	global_atomic_cmpswap_x2 v[12:13], v0, v[12:15], s[6:7] offset:24 glc
	s_waitcnt vmcnt(0)
	buffer_gl1_inv
	buffer_gl0_inv
	v_cmp_eq_u64_e32 vcc_lo, v[12:13], v[14:15]
	s_or_b32 s11, vcc_lo, s11
	s_andn2_b32 exec_lo, exec_lo, s11
	s_cbranch_execnz .LBB1_234
; %bb.235:
	s_or_b32 exec_lo, exec_lo, s11
.LBB1_236:
	s_or_b32 exec_lo, exec_lo, s10
.LBB1_237:
	s_or_b32 exec_lo, exec_lo, s5
	v_mov_b32_e32 v11, 0
	v_readfirstlane_b32 s11, v13
	v_readfirstlane_b32 s10, v12
	s_mov_b32 s5, exec_lo
	s_clause 0x1
	global_load_dwordx2 v[14:15], v11, s[6:7] offset:40
	global_load_dwordx4 v[0:3], v11, s[6:7]
	s_waitcnt vmcnt(1)
	v_readfirstlane_b32 s12, v14
	v_readfirstlane_b32 s13, v15
	s_and_b64 s[12:13], s[12:13], s[10:11]
	s_mul_i32 s15, s13, 24
	s_mul_hi_u32 s16, s12, 24
	s_mul_i32 s17, s12, 24
	s_add_i32 s16, s16, s15
	s_waitcnt vmcnt(0)
	v_add_co_u32 v13, vcc_lo, v0, s17
	v_add_co_ci_u32_e64 v14, null, s16, v1, vcc_lo
	s_and_saveexec_b32 s15, s4
	s_cbranch_execz .LBB1_239
; %bb.238:
	v_mov_b32_e32 v15, s5
	v_mov_b32_e32 v16, v11
	;; [unrolled: 1-line block ×4, first 2 shown]
	global_store_dwordx4 v[13:14], v[15:18], off offset:8
.LBB1_239:
	s_or_b32 exec_lo, exec_lo, s15
	s_lshl_b64 s[12:13], s[12:13], 12
	s_mov_b32 s16, 0
	v_add_co_u32 v2, vcc_lo, v2, s12
	v_add_co_ci_u32_e64 v3, null, s13, v3, vcc_lo
	s_mov_b32 s19, s16
	v_add_co_u32 v15, vcc_lo, v2, v38
	s_mov_b32 s17, s16
	s_mov_b32 s18, s16
	v_and_or_b32 v9, 0xffffff1f, v9, 32
	v_mov_b32_e32 v12, v11
	v_readfirstlane_b32 s12, v2
	v_readfirstlane_b32 s13, v3
	v_mov_b32_e32 v20, s19
	v_add_co_ci_u32_e64 v16, null, 0, v3, vcc_lo
	v_mov_b32_e32 v19, s18
	v_mov_b32_e32 v18, s17
	;; [unrolled: 1-line block ×3, first 2 shown]
	global_store_dwordx4 v38, v[9:12], s[12:13]
	global_store_dwordx4 v38, v[17:20], s[12:13] offset:16
	global_store_dwordx4 v38, v[17:20], s[12:13] offset:32
	global_store_dwordx4 v38, v[17:20], s[12:13] offset:48
	s_and_saveexec_b32 s5, s4
	s_cbranch_execz .LBB1_247
; %bb.240:
	v_mov_b32_e32 v11, 0
	v_mov_b32_e32 v17, s10
	;; [unrolled: 1-line block ×3, first 2 shown]
	s_clause 0x1
	global_load_dwordx2 v[19:20], v11, s[6:7] offset:32 glc dlc
	global_load_dwordx2 v[2:3], v11, s[6:7] offset:40
	s_waitcnt vmcnt(0)
	v_readfirstlane_b32 s12, v2
	v_readfirstlane_b32 s13, v3
	s_and_b64 s[12:13], s[12:13], s[10:11]
	s_mul_i32 s13, s13, 24
	s_mul_hi_u32 s15, s12, 24
	s_mul_i32 s12, s12, 24
	s_add_i32 s15, s15, s13
	v_add_co_u32 v9, vcc_lo, v0, s12
	v_add_co_ci_u32_e64 v10, null, s15, v1, vcc_lo
	s_mov_b32 s12, exec_lo
	global_store_dwordx2 v[9:10], v[19:20], off
	s_waitcnt_vscnt null, 0x0
	global_atomic_cmpswap_x2 v[2:3], v11, v[17:20], s[6:7] offset:32 glc
	s_waitcnt vmcnt(0)
	v_cmpx_ne_u64_e64 v[2:3], v[19:20]
	s_cbranch_execz .LBB1_243
; %bb.241:
	s_mov_b32 s13, 0
.LBB1_242:                              ; =>This Inner Loop Header: Depth=1
	v_mov_b32_e32 v0, s10
	v_mov_b32_e32 v1, s11
	s_sleep 1
	global_store_dwordx2 v[9:10], v[2:3], off
	s_waitcnt_vscnt null, 0x0
	global_atomic_cmpswap_x2 v[0:1], v11, v[0:3], s[6:7] offset:32 glc
	s_waitcnt vmcnt(0)
	v_cmp_eq_u64_e32 vcc_lo, v[0:1], v[2:3]
	v_mov_b32_e32 v3, v1
	v_mov_b32_e32 v2, v0
	s_or_b32 s13, vcc_lo, s13
	s_andn2_b32 exec_lo, exec_lo, s13
	s_cbranch_execnz .LBB1_242
.LBB1_243:
	s_or_b32 exec_lo, exec_lo, s12
	v_mov_b32_e32 v3, 0
	s_mov_b32 s13, exec_lo
	s_mov_b32 s12, exec_lo
	v_mbcnt_lo_u32_b32 v2, s13, 0
	global_load_dwordx2 v[0:1], v3, s[6:7] offset:16
	v_cmpx_eq_u32_e32 0, v2
	s_cbranch_execz .LBB1_245
; %bb.244:
	s_bcnt1_i32_b32 s13, s13
	v_mov_b32_e32 v2, s13
	s_waitcnt vmcnt(0)
	global_atomic_add_x2 v[0:1], v[2:3], off offset:8
.LBB1_245:
	s_or_b32 exec_lo, exec_lo, s12
	s_waitcnt vmcnt(0)
	global_load_dwordx2 v[2:3], v[0:1], off offset:16
	s_waitcnt vmcnt(0)
	v_cmp_eq_u64_e32 vcc_lo, 0, v[2:3]
	s_cbranch_vccnz .LBB1_247
; %bb.246:
	global_load_dword v0, v[0:1], off offset:24
	v_mov_b32_e32 v1, 0
	s_waitcnt vmcnt(0)
	v_readfirstlane_b32 s12, v0
	s_waitcnt_vscnt null, 0x0
	global_store_dwordx2 v[2:3], v[0:1], off
	s_and_b32 m0, s12, 0x7fffff
	s_sendmsg sendmsg(MSG_INTERRUPT)
.LBB1_247:
	s_or_b32 exec_lo, exec_lo, s5
	s_branch .LBB1_251
	.p2align	6
.LBB1_248:                              ;   in Loop: Header=BB1_251 Depth=1
	s_or_b32 exec_lo, exec_lo, s5
	v_readfirstlane_b32 s5, v0
	s_cmp_eq_u32 s5, 0
	s_cbranch_scc1 .LBB1_250
; %bb.249:                              ;   in Loop: Header=BB1_251 Depth=1
	s_sleep 1
	s_cbranch_execnz .LBB1_251
	s_branch .LBB1_253
	.p2align	6
.LBB1_250:
	s_branch .LBB1_253
.LBB1_251:                              ; =>This Inner Loop Header: Depth=1
	v_mov_b32_e32 v0, 1
	s_and_saveexec_b32 s5, s4
	s_cbranch_execz .LBB1_248
; %bb.252:                              ;   in Loop: Header=BB1_251 Depth=1
	global_load_dword v0, v[13:14], off offset:20 glc dlc
	s_waitcnt vmcnt(0)
	buffer_gl1_inv
	buffer_gl0_inv
	v_and_b32_e32 v0, 1, v0
	s_branch .LBB1_248
.LBB1_253:
	global_load_dwordx2 v[9:10], v[15:16], off
	s_and_saveexec_b32 s12, s4
	s_cbranch_execz .LBB1_257
; %bb.254:
	v_mov_b32_e32 v13, 0
	s_clause 0x2
	global_load_dwordx2 v[0:1], v13, s[6:7] offset:40
	global_load_dwordx2 v[16:17], v13, s[6:7] offset:24 glc dlc
	global_load_dwordx2 v[2:3], v13, s[6:7]
	s_waitcnt vmcnt(2)
	v_readfirstlane_b32 s16, v0
	v_readfirstlane_b32 s17, v1
	s_add_u32 s13, s16, 1
	s_addc_u32 s15, s17, 0
	s_add_u32 s4, s13, s10
	s_addc_u32 s5, s15, s11
	s_cmp_eq_u64 s[4:5], 0
	s_cselect_b32 s5, s15, s5
	s_cselect_b32 s4, s13, s4
	v_mov_b32_e32 v15, s5
	s_and_b64 s[10:11], s[4:5], s[16:17]
	v_mov_b32_e32 v14, s4
	s_mul_i32 s11, s11, 24
	s_mul_hi_u32 s13, s10, 24
	s_mul_i32 s10, s10, 24
	s_add_i32 s13, s13, s11
	s_waitcnt vmcnt(0)
	v_add_co_u32 v11, vcc_lo, v2, s10
	v_add_co_ci_u32_e64 v12, null, s13, v3, vcc_lo
	global_store_dwordx2 v[11:12], v[16:17], off
	s_waitcnt_vscnt null, 0x0
	global_atomic_cmpswap_x2 v[2:3], v13, v[14:17], s[6:7] offset:24 glc
	s_waitcnt vmcnt(0)
	v_cmp_ne_u64_e32 vcc_lo, v[2:3], v[16:17]
	s_and_b32 exec_lo, exec_lo, vcc_lo
	s_cbranch_execz .LBB1_257
; %bb.255:
	s_mov_b32 s10, 0
.LBB1_256:                              ; =>This Inner Loop Header: Depth=1
	v_mov_b32_e32 v0, s4
	v_mov_b32_e32 v1, s5
	s_sleep 1
	global_store_dwordx2 v[11:12], v[2:3], off
	s_waitcnt_vscnt null, 0x0
	global_atomic_cmpswap_x2 v[0:1], v13, v[0:3], s[6:7] offset:24 glc
	s_waitcnt vmcnt(0)
	v_cmp_eq_u64_e32 vcc_lo, v[0:1], v[2:3]
	v_mov_b32_e32 v3, v1
	v_mov_b32_e32 v2, v0
	s_or_b32 s10, vcc_lo, s10
	s_andn2_b32 exec_lo, exec_lo, s10
	s_cbranch_execnz .LBB1_256
.LBB1_257:
	s_or_b32 exec_lo, exec_lo, s12
.LBB1_258:
	s_or_b32 exec_lo, exec_lo, s14
	v_readfirstlane_b32 s4, v37
	v_mov_b32_e32 v13, 0
	v_mov_b32_e32 v14, 0
	v_cmp_eq_u32_e64 s4, s4, v37
	s_and_saveexec_b32 s5, s4
	s_cbranch_execz .LBB1_264
; %bb.259:
	v_mov_b32_e32 v0, 0
	s_mov_b32 s10, exec_lo
	global_load_dwordx2 v[15:16], v0, s[6:7] offset:24 glc dlc
	s_waitcnt vmcnt(0)
	buffer_gl1_inv
	buffer_gl0_inv
	s_clause 0x1
	global_load_dwordx2 v[1:2], v0, s[6:7] offset:40
	global_load_dwordx2 v[11:12], v0, s[6:7]
	s_waitcnt vmcnt(1)
	v_and_b32_e32 v2, v2, v16
	v_and_b32_e32 v1, v1, v15
	v_mul_lo_u32 v2, v2, 24
	v_mul_hi_u32 v3, v1, 24
	v_mul_lo_u32 v1, v1, 24
	v_add_nc_u32_e32 v2, v3, v2
	s_waitcnt vmcnt(0)
	v_add_co_u32 v1, vcc_lo, v11, v1
	v_add_co_ci_u32_e64 v2, null, v12, v2, vcc_lo
	global_load_dwordx2 v[13:14], v[1:2], off glc dlc
	s_waitcnt vmcnt(0)
	global_atomic_cmpswap_x2 v[13:14], v0, v[13:16], s[6:7] offset:24 glc
	s_waitcnt vmcnt(0)
	buffer_gl1_inv
	buffer_gl0_inv
	v_cmpx_ne_u64_e64 v[13:14], v[15:16]
	s_cbranch_execz .LBB1_263
; %bb.260:
	s_mov_b32 s11, 0
	.p2align	6
.LBB1_261:                              ; =>This Inner Loop Header: Depth=1
	s_sleep 1
	s_clause 0x1
	global_load_dwordx2 v[1:2], v0, s[6:7] offset:40
	global_load_dwordx2 v[11:12], v0, s[6:7]
	v_mov_b32_e32 v16, v14
	v_mov_b32_e32 v15, v13
	s_waitcnt vmcnt(1)
	v_and_b32_e32 v1, v1, v15
	v_and_b32_e32 v2, v2, v16
	s_waitcnt vmcnt(0)
	v_mad_u64_u32 v[11:12], null, v1, 24, v[11:12]
	v_mov_b32_e32 v1, v12
	v_mad_u64_u32 v[1:2], null, v2, 24, v[1:2]
	v_mov_b32_e32 v12, v1
	global_load_dwordx2 v[13:14], v[11:12], off glc dlc
	s_waitcnt vmcnt(0)
	global_atomic_cmpswap_x2 v[13:14], v0, v[13:16], s[6:7] offset:24 glc
	s_waitcnt vmcnt(0)
	buffer_gl1_inv
	buffer_gl0_inv
	v_cmp_eq_u64_e32 vcc_lo, v[13:14], v[15:16]
	s_or_b32 s11, vcc_lo, s11
	s_andn2_b32 exec_lo, exec_lo, s11
	s_cbranch_execnz .LBB1_261
; %bb.262:
	s_or_b32 exec_lo, exec_lo, s11
.LBB1_263:
	s_or_b32 exec_lo, exec_lo, s10
.LBB1_264:
	s_or_b32 exec_lo, exec_lo, s5
	v_mov_b32_e32 v12, 0
	v_readfirstlane_b32 s11, v14
	v_readfirstlane_b32 s10, v13
	s_mov_b32 s5, exec_lo
	s_clause 0x1
	global_load_dwordx2 v[15:16], v12, s[6:7] offset:40
	global_load_dwordx4 v[0:3], v12, s[6:7]
	s_waitcnt vmcnt(1)
	v_readfirstlane_b32 s12, v15
	v_readfirstlane_b32 s13, v16
	s_and_b64 s[12:13], s[12:13], s[10:11]
	s_mul_i32 s14, s13, 24
	s_mul_hi_u32 s15, s12, 24
	s_mul_i32 s16, s12, 24
	s_add_i32 s15, s15, s14
	s_waitcnt vmcnt(0)
	v_add_co_u32 v13, vcc_lo, v0, s16
	v_add_co_ci_u32_e64 v14, null, s15, v1, vcc_lo
	s_and_saveexec_b32 s14, s4
	s_cbranch_execz .LBB1_266
; %bb.265:
	v_mov_b32_e32 v11, s5
	v_mov_b32_e32 v16, v12
	;; [unrolled: 1-line block ×5, first 2 shown]
	global_store_dwordx4 v[13:14], v[15:18], off offset:8
.LBB1_266:
	s_or_b32 exec_lo, exec_lo, s14
	s_lshl_b64 s[12:13], s[12:13], 12
	v_and_or_b32 v9, 0xffffff1f, v9, 32
	v_add_co_u32 v2, vcc_lo, v2, s12
	v_add_co_ci_u32_e64 v3, null, s13, v3, vcc_lo
	s_mov_b32 s12, 0
	v_add_co_u32 v15, vcc_lo, v2, v38
	s_mov_b32 s15, s12
	s_mov_b32 s13, s12
	;; [unrolled: 1-line block ×3, first 2 shown]
	v_mov_b32_e32 v11, v4
	v_readfirstlane_b32 s16, v2
	v_readfirstlane_b32 s17, v3
	v_mov_b32_e32 v20, s15
	v_add_co_ci_u32_e64 v16, null, 0, v3, vcc_lo
	v_mov_b32_e32 v19, s14
	v_mov_b32_e32 v18, s13
	;; [unrolled: 1-line block ×3, first 2 shown]
	global_store_dwordx4 v38, v[9:12], s[16:17]
	global_store_dwordx4 v38, v[17:20], s[16:17] offset:16
	global_store_dwordx4 v38, v[17:20], s[16:17] offset:32
	;; [unrolled: 1-line block ×3, first 2 shown]
	s_and_saveexec_b32 s5, s4
	s_cbranch_execz .LBB1_274
; %bb.267:
	v_mov_b32_e32 v4, 0
	v_mov_b32_e32 v17, s10
	;; [unrolled: 1-line block ×3, first 2 shown]
	s_clause 0x1
	global_load_dwordx2 v[19:20], v4, s[6:7] offset:32 glc dlc
	global_load_dwordx2 v[2:3], v4, s[6:7] offset:40
	s_waitcnt vmcnt(0)
	v_readfirstlane_b32 s12, v2
	v_readfirstlane_b32 s13, v3
	s_and_b64 s[12:13], s[12:13], s[10:11]
	s_mul_i32 s13, s13, 24
	s_mul_hi_u32 s14, s12, 24
	s_mul_i32 s12, s12, 24
	s_add_i32 s14, s14, s13
	v_add_co_u32 v9, vcc_lo, v0, s12
	v_add_co_ci_u32_e64 v10, null, s14, v1, vcc_lo
	s_mov_b32 s12, exec_lo
	global_store_dwordx2 v[9:10], v[19:20], off
	s_waitcnt_vscnt null, 0x0
	global_atomic_cmpswap_x2 v[2:3], v4, v[17:20], s[6:7] offset:32 glc
	s_waitcnt vmcnt(0)
	v_cmpx_ne_u64_e64 v[2:3], v[19:20]
	s_cbranch_execz .LBB1_270
; %bb.268:
	s_mov_b32 s13, 0
.LBB1_269:                              ; =>This Inner Loop Header: Depth=1
	v_mov_b32_e32 v0, s10
	v_mov_b32_e32 v1, s11
	s_sleep 1
	global_store_dwordx2 v[9:10], v[2:3], off
	s_waitcnt_vscnt null, 0x0
	global_atomic_cmpswap_x2 v[0:1], v4, v[0:3], s[6:7] offset:32 glc
	s_waitcnt vmcnt(0)
	v_cmp_eq_u64_e32 vcc_lo, v[0:1], v[2:3]
	v_mov_b32_e32 v3, v1
	v_mov_b32_e32 v2, v0
	s_or_b32 s13, vcc_lo, s13
	s_andn2_b32 exec_lo, exec_lo, s13
	s_cbranch_execnz .LBB1_269
.LBB1_270:
	s_or_b32 exec_lo, exec_lo, s12
	v_mov_b32_e32 v3, 0
	s_mov_b32 s13, exec_lo
	s_mov_b32 s12, exec_lo
	v_mbcnt_lo_u32_b32 v2, s13, 0
	global_load_dwordx2 v[0:1], v3, s[6:7] offset:16
	v_cmpx_eq_u32_e32 0, v2
	s_cbranch_execz .LBB1_272
; %bb.271:
	s_bcnt1_i32_b32 s13, s13
	v_mov_b32_e32 v2, s13
	s_waitcnt vmcnt(0)
	global_atomic_add_x2 v[0:1], v[2:3], off offset:8
.LBB1_272:
	s_or_b32 exec_lo, exec_lo, s12
	s_waitcnt vmcnt(0)
	global_load_dwordx2 v[2:3], v[0:1], off offset:16
	s_waitcnt vmcnt(0)
	v_cmp_eq_u64_e32 vcc_lo, 0, v[2:3]
	s_cbranch_vccnz .LBB1_274
; %bb.273:
	global_load_dword v0, v[0:1], off offset:24
	v_mov_b32_e32 v1, 0
	s_waitcnt vmcnt(0)
	v_readfirstlane_b32 s12, v0
	s_waitcnt_vscnt null, 0x0
	global_store_dwordx2 v[2:3], v[0:1], off
	s_and_b32 m0, s12, 0x7fffff
	s_sendmsg sendmsg(MSG_INTERRUPT)
.LBB1_274:
	s_or_b32 exec_lo, exec_lo, s5
	s_branch .LBB1_278
	.p2align	6
.LBB1_275:                              ;   in Loop: Header=BB1_278 Depth=1
	s_or_b32 exec_lo, exec_lo, s5
	v_readfirstlane_b32 s5, v0
	s_cmp_eq_u32 s5, 0
	s_cbranch_scc1 .LBB1_277
; %bb.276:                              ;   in Loop: Header=BB1_278 Depth=1
	s_sleep 1
	s_cbranch_execnz .LBB1_278
	s_branch .LBB1_280
	.p2align	6
.LBB1_277:
	s_branch .LBB1_280
.LBB1_278:                              ; =>This Inner Loop Header: Depth=1
	v_mov_b32_e32 v0, 1
	s_and_saveexec_b32 s5, s4
	s_cbranch_execz .LBB1_275
; %bb.279:                              ;   in Loop: Header=BB1_278 Depth=1
	global_load_dword v0, v[13:14], off offset:20 glc dlc
	s_waitcnt vmcnt(0)
	buffer_gl1_inv
	buffer_gl0_inv
	v_and_b32_e32 v0, 1, v0
	s_branch .LBB1_275
.LBB1_280:
	global_load_dwordx2 v[0:1], v[15:16], off
	s_and_saveexec_b32 s12, s4
	s_cbranch_execz .LBB1_284
; %bb.281:
	v_mov_b32_e32 v4, 0
	s_clause 0x2
	global_load_dwordx2 v[2:3], v4, s[6:7] offset:40
	global_load_dwordx2 v[13:14], v4, s[6:7] offset:24 glc dlc
	global_load_dwordx2 v[9:10], v4, s[6:7]
	s_waitcnt vmcnt(2)
	v_readfirstlane_b32 s14, v2
	v_readfirstlane_b32 s15, v3
	s_add_u32 s13, s14, 1
	s_addc_u32 s16, s15, 0
	s_add_u32 s4, s13, s10
	s_addc_u32 s5, s16, s11
	s_cmp_eq_u64 s[4:5], 0
	s_cselect_b32 s5, s16, s5
	s_cselect_b32 s4, s13, s4
	v_mov_b32_e32 v12, s5
	s_and_b64 s[10:11], s[4:5], s[14:15]
	v_mov_b32_e32 v11, s4
	s_mul_i32 s11, s11, 24
	s_mul_hi_u32 s13, s10, 24
	s_mul_i32 s10, s10, 24
	s_add_i32 s13, s13, s11
	s_waitcnt vmcnt(0)
	v_add_co_u32 v2, vcc_lo, v9, s10
	v_add_co_ci_u32_e64 v3, null, s13, v10, vcc_lo
	global_store_dwordx2 v[2:3], v[13:14], off
	s_waitcnt_vscnt null, 0x0
	global_atomic_cmpswap_x2 v[11:12], v4, v[11:14], s[6:7] offset:24 glc
	s_waitcnt vmcnt(0)
	v_cmp_ne_u64_e32 vcc_lo, v[11:12], v[13:14]
	s_and_b32 exec_lo, exec_lo, vcc_lo
	s_cbranch_execz .LBB1_284
; %bb.282:
	s_mov_b32 s10, 0
.LBB1_283:                              ; =>This Inner Loop Header: Depth=1
	v_mov_b32_e32 v9, s4
	v_mov_b32_e32 v10, s5
	s_sleep 1
	global_store_dwordx2 v[2:3], v[11:12], off
	s_waitcnt_vscnt null, 0x0
	global_atomic_cmpswap_x2 v[9:10], v4, v[9:12], s[6:7] offset:24 glc
	s_waitcnt vmcnt(0)
	v_cmp_eq_u64_e32 vcc_lo, v[9:10], v[11:12]
	v_mov_b32_e32 v12, v10
	v_mov_b32_e32 v11, v9
	s_or_b32 s10, vcc_lo, s10
	s_andn2_b32 exec_lo, exec_lo, s10
	s_cbranch_execnz .LBB1_283
.LBB1_284:
	s_or_b32 exec_lo, exec_lo, s12
	v_mov_b32_e32 v3, v5
	v_mov_b32_e32 v4, v6
	s_mov_b32 s4, 0
.LBB1_285:                              ; =>This Inner Loop Header: Depth=1
	global_load_ubyte v9, v[3:4], off
	v_add_co_u32 v2, vcc_lo, v3, 1
	v_add_co_ci_u32_e64 v3, null, 0, v4, vcc_lo
	v_mov_b32_e32 v4, v3
	v_mov_b32_e32 v3, v2
	s_waitcnt vmcnt(0)
	v_cmp_eq_u16_e32 vcc_lo, 0, v9
	s_or_b32 s4, vcc_lo, s4
	s_andn2_b32 exec_lo, exec_lo, s4
	s_cbranch_execnz .LBB1_285
; %bb.286:
	s_or_b32 exec_lo, exec_lo, s4
	s_mov_b32 s4, exec_lo
	v_cmpx_ne_u64_e32 0, v[5:6]
	s_xor_b32 s14, exec_lo, s4
	s_cbranch_execz .LBB1_372
; %bb.287:
	v_sub_nc_u32_e32 v29, v2, v5
	v_and_b32_e32 v4, 2, v0
	v_mov_b32_e32 v10, 0
	v_and_b32_e32 v0, -3, v0
	v_mov_b32_e32 v11, 2
	v_ashrrev_i32_e32 v30, 31, v29
	v_mov_b32_e32 v12, 1
	s_mov_b32 s16, 0
	s_mov_b32 s15, 0
	s_branch .LBB1_289
.LBB1_288:                              ;   in Loop: Header=BB1_289 Depth=1
	s_or_b32 exec_lo, exec_lo, s12
	v_sub_co_u32 v29, vcc_lo, v29, v31
	v_sub_co_ci_u32_e64 v30, null, v30, v32, vcc_lo
	v_add_co_u32 v5, s4, v5, v31
	v_add_co_ci_u32_e64 v6, null, v6, v32, s4
	v_cmp_eq_u64_e32 vcc_lo, 0, v[29:30]
	s_or_b32 s15, vcc_lo, s15
	s_andn2_b32 exec_lo, exec_lo, s15
	s_cbranch_execz .LBB1_371
.LBB1_289:                              ; =>This Loop Header: Depth=1
                                        ;     Child Loop BB1_292 Depth 2
                                        ;     Child Loop BB1_300 Depth 2
	;; [unrolled: 1-line block ×11, first 2 shown]
	v_cmp_gt_u64_e32 vcc_lo, 56, v[29:30]
	s_mov_b32 s5, exec_lo
	v_cndmask_b32_e32 v32, 0, v30, vcc_lo
	v_cndmask_b32_e32 v31, 56, v29, vcc_lo
	v_add_co_u32 v15, vcc_lo, v5, 8
	v_add_co_ci_u32_e64 v16, null, 0, v6, vcc_lo
	v_cmpx_gt_u64_e32 8, v[29:30]
	s_xor_b32 s5, exec_lo, s5
	s_cbranch_execz .LBB1_295
; %bb.290:                              ;   in Loop: Header=BB1_289 Depth=1
	v_mov_b32_e32 v2, 0
	v_mov_b32_e32 v3, 0
	s_mov_b32 s12, exec_lo
	v_cmpx_ne_u64_e32 0, v[29:30]
	s_cbranch_execz .LBB1_294
; %bb.291:                              ;   in Loop: Header=BB1_289 Depth=1
	v_lshlrev_b64 v[13:14], 3, v[31:32]
	v_mov_b32_e32 v2, 0
	v_mov_b32_e32 v15, v6
	;; [unrolled: 1-line block ×4, first 2 shown]
	s_mov_b64 s[10:11], 0
	s_mov_b32 s13, 0
	.p2align	6
.LBB1_292:                              ;   Parent Loop BB1_289 Depth=1
                                        ; =>  This Inner Loop Header: Depth=2
	global_load_ubyte v9, v[14:15], off
	v_mov_b32_e32 v17, s16
	v_add_co_u32 v14, vcc_lo, v14, 1
	v_add_co_ci_u32_e64 v15, null, 0, v15, vcc_lo
	s_waitcnt vmcnt(0)
	v_and_b32_e32 v16, 0xffff, v9
	v_lshlrev_b64 v[16:17], s10, v[16:17]
	s_add_u32 s10, s10, 8
	s_addc_u32 s11, s11, 0
	v_cmp_eq_u32_e64 s4, s10, v13
	v_or_b32_e32 v3, v17, v3
	v_or_b32_e32 v2, v16, v2
	s_or_b32 s13, s4, s13
	s_andn2_b32 exec_lo, exec_lo, s13
	s_cbranch_execnz .LBB1_292
; %bb.293:                              ;   in Loop: Header=BB1_289 Depth=1
	s_or_b32 exec_lo, exec_lo, s13
.LBB1_294:                              ;   in Loop: Header=BB1_289 Depth=1
	s_or_b32 exec_lo, exec_lo, s12
	v_mov_b32_e32 v16, v6
	v_mov_b32_e32 v15, v5
.LBB1_295:                              ;   in Loop: Header=BB1_289 Depth=1
	s_or_saveexec_b32 s4, s5
	v_mov_b32_e32 v9, 0
	s_xor_b32 exec_lo, exec_lo, s4
	s_cbranch_execz .LBB1_297
; %bb.296:                              ;   in Loop: Header=BB1_289 Depth=1
	global_load_dwordx2 v[2:3], v[5:6], off
	v_add_nc_u32_e32 v9, -8, v31
.LBB1_297:                              ;   in Loop: Header=BB1_289 Depth=1
	s_or_b32 exec_lo, exec_lo, s4
	v_add_co_u32 v17, s4, v15, 8
	v_add_co_ci_u32_e64 v18, null, 0, v16, s4
                                        ; implicit-def: $vgpr13_vgpr14
	s_mov_b32 s4, exec_lo
	v_cmpx_gt_u32_e32 8, v9
	s_xor_b32 s12, exec_lo, s4
	s_cbranch_execz .LBB1_303
; %bb.298:                              ;   in Loop: Header=BB1_289 Depth=1
	v_mov_b32_e32 v13, 0
	v_mov_b32_e32 v14, 0
	s_mov_b32 s13, exec_lo
	v_cmpx_ne_u32_e32 0, v9
	s_cbranch_execz .LBB1_302
; %bb.299:                              ;   in Loop: Header=BB1_289 Depth=1
	v_mov_b32_e32 v13, 0
	v_mov_b32_e32 v14, 0
	s_mov_b64 s[4:5], 0
	s_mov_b32 s17, 0
	s_mov_b64 s[10:11], 0
	.p2align	6
.LBB1_300:                              ;   Parent Loop BB1_289 Depth=1
                                        ; =>  This Inner Loop Header: Depth=2
	v_add_co_u32 v17, vcc_lo, v15, s10
	v_add_co_ci_u32_e64 v18, null, s11, v16, vcc_lo
	s_add_u32 s10, s10, 1
	s_addc_u32 s11, s11, 0
	v_cmp_eq_u32_e32 vcc_lo, s10, v9
	global_load_ubyte v17, v[17:18], off
	v_mov_b32_e32 v18, s16
	s_waitcnt vmcnt(0)
	v_and_b32_e32 v17, 0xffff, v17
	v_lshlrev_b64 v[17:18], s4, v[17:18]
	s_add_u32 s4, s4, 8
	s_addc_u32 s5, s5, 0
	s_or_b32 s17, vcc_lo, s17
	v_or_b32_e32 v14, v18, v14
	v_or_b32_e32 v13, v17, v13
	s_andn2_b32 exec_lo, exec_lo, s17
	s_cbranch_execnz .LBB1_300
; %bb.301:                              ;   in Loop: Header=BB1_289 Depth=1
	s_or_b32 exec_lo, exec_lo, s17
.LBB1_302:                              ;   in Loop: Header=BB1_289 Depth=1
	s_or_b32 exec_lo, exec_lo, s13
	v_mov_b32_e32 v18, v16
	v_mov_b32_e32 v17, v15
                                        ; implicit-def: $vgpr9
.LBB1_303:                              ;   in Loop: Header=BB1_289 Depth=1
	s_or_saveexec_b32 s4, s12
	v_mov_b32_e32 v21, 0
	s_xor_b32 exec_lo, exec_lo, s4
	s_cbranch_execz .LBB1_305
; %bb.304:                              ;   in Loop: Header=BB1_289 Depth=1
	global_load_dwordx2 v[13:14], v[15:16], off
	v_add_nc_u32_e32 v21, -8, v9
.LBB1_305:                              ;   in Loop: Header=BB1_289 Depth=1
	s_or_b32 exec_lo, exec_lo, s4
	v_add_co_u32 v19, s4, v17, 8
	v_add_co_ci_u32_e64 v20, null, 0, v18, s4
	s_mov_b32 s4, exec_lo
	v_cmpx_gt_u32_e32 8, v21
	s_xor_b32 s12, exec_lo, s4
	s_cbranch_execz .LBB1_311
; %bb.306:                              ;   in Loop: Header=BB1_289 Depth=1
	v_mov_b32_e32 v15, 0
	v_mov_b32_e32 v16, 0
	s_mov_b32 s13, exec_lo
	v_cmpx_ne_u32_e32 0, v21
	s_cbranch_execz .LBB1_310
; %bb.307:                              ;   in Loop: Header=BB1_289 Depth=1
	v_mov_b32_e32 v15, 0
	v_mov_b32_e32 v16, 0
	s_mov_b64 s[4:5], 0
	s_mov_b32 s17, 0
	s_mov_b64 s[10:11], 0
	.p2align	6
.LBB1_308:                              ;   Parent Loop BB1_289 Depth=1
                                        ; =>  This Inner Loop Header: Depth=2
	v_add_co_u32 v19, vcc_lo, v17, s10
	v_add_co_ci_u32_e64 v20, null, s11, v18, vcc_lo
	s_add_u32 s10, s10, 1
	s_addc_u32 s11, s11, 0
	v_cmp_eq_u32_e32 vcc_lo, s10, v21
	global_load_ubyte v9, v[19:20], off
	v_mov_b32_e32 v20, s16
	s_waitcnt vmcnt(0)
	v_and_b32_e32 v19, 0xffff, v9
	v_lshlrev_b64 v[19:20], s4, v[19:20]
	s_add_u32 s4, s4, 8
	s_addc_u32 s5, s5, 0
	s_or_b32 s17, vcc_lo, s17
	v_or_b32_e32 v16, v20, v16
	v_or_b32_e32 v15, v19, v15
	s_andn2_b32 exec_lo, exec_lo, s17
	s_cbranch_execnz .LBB1_308
; %bb.309:                              ;   in Loop: Header=BB1_289 Depth=1
	s_or_b32 exec_lo, exec_lo, s17
.LBB1_310:                              ;   in Loop: Header=BB1_289 Depth=1
	s_or_b32 exec_lo, exec_lo, s13
	v_mov_b32_e32 v20, v18
	v_mov_b32_e32 v19, v17
                                        ; implicit-def: $vgpr21
.LBB1_311:                              ;   in Loop: Header=BB1_289 Depth=1
	s_or_saveexec_b32 s4, s12
	v_mov_b32_e32 v9, 0
	s_xor_b32 exec_lo, exec_lo, s4
	s_cbranch_execz .LBB1_313
; %bb.312:                              ;   in Loop: Header=BB1_289 Depth=1
	global_load_dwordx2 v[15:16], v[17:18], off
	v_add_nc_u32_e32 v9, -8, v21
.LBB1_313:                              ;   in Loop: Header=BB1_289 Depth=1
	s_or_b32 exec_lo, exec_lo, s4
	v_add_co_u32 v21, s4, v19, 8
	v_add_co_ci_u32_e64 v22, null, 0, v20, s4
                                        ; implicit-def: $vgpr17_vgpr18
	s_mov_b32 s4, exec_lo
	v_cmpx_gt_u32_e32 8, v9
	s_xor_b32 s12, exec_lo, s4
	s_cbranch_execz .LBB1_319
; %bb.314:                              ;   in Loop: Header=BB1_289 Depth=1
	v_mov_b32_e32 v17, 0
	v_mov_b32_e32 v18, 0
	s_mov_b32 s13, exec_lo
	v_cmpx_ne_u32_e32 0, v9
	s_cbranch_execz .LBB1_318
; %bb.315:                              ;   in Loop: Header=BB1_289 Depth=1
	v_mov_b32_e32 v17, 0
	v_mov_b32_e32 v18, 0
	s_mov_b64 s[4:5], 0
	s_mov_b32 s17, 0
	s_mov_b64 s[10:11], 0
	.p2align	6
.LBB1_316:                              ;   Parent Loop BB1_289 Depth=1
                                        ; =>  This Inner Loop Header: Depth=2
	v_add_co_u32 v21, vcc_lo, v19, s10
	v_add_co_ci_u32_e64 v22, null, s11, v20, vcc_lo
	s_add_u32 s10, s10, 1
	s_addc_u32 s11, s11, 0
	v_cmp_eq_u32_e32 vcc_lo, s10, v9
	global_load_ubyte v21, v[21:22], off
	v_mov_b32_e32 v22, s16
	s_waitcnt vmcnt(0)
	v_and_b32_e32 v21, 0xffff, v21
	v_lshlrev_b64 v[21:22], s4, v[21:22]
	s_add_u32 s4, s4, 8
	s_addc_u32 s5, s5, 0
	s_or_b32 s17, vcc_lo, s17
	v_or_b32_e32 v18, v22, v18
	v_or_b32_e32 v17, v21, v17
	s_andn2_b32 exec_lo, exec_lo, s17
	s_cbranch_execnz .LBB1_316
; %bb.317:                              ;   in Loop: Header=BB1_289 Depth=1
	s_or_b32 exec_lo, exec_lo, s17
.LBB1_318:                              ;   in Loop: Header=BB1_289 Depth=1
	s_or_b32 exec_lo, exec_lo, s13
	v_mov_b32_e32 v22, v20
	v_mov_b32_e32 v21, v19
                                        ; implicit-def: $vgpr9
.LBB1_319:                              ;   in Loop: Header=BB1_289 Depth=1
	s_or_saveexec_b32 s4, s12
	v_mov_b32_e32 v25, 0
	s_xor_b32 exec_lo, exec_lo, s4
	s_cbranch_execz .LBB1_321
; %bb.320:                              ;   in Loop: Header=BB1_289 Depth=1
	global_load_dwordx2 v[17:18], v[19:20], off
	v_add_nc_u32_e32 v25, -8, v9
.LBB1_321:                              ;   in Loop: Header=BB1_289 Depth=1
	s_or_b32 exec_lo, exec_lo, s4
	v_add_co_u32 v23, s4, v21, 8
	v_add_co_ci_u32_e64 v24, null, 0, v22, s4
	s_mov_b32 s4, exec_lo
	v_cmpx_gt_u32_e32 8, v25
	s_xor_b32 s12, exec_lo, s4
	s_cbranch_execz .LBB1_327
; %bb.322:                              ;   in Loop: Header=BB1_289 Depth=1
	v_mov_b32_e32 v19, 0
	v_mov_b32_e32 v20, 0
	s_mov_b32 s13, exec_lo
	v_cmpx_ne_u32_e32 0, v25
	s_cbranch_execz .LBB1_326
; %bb.323:                              ;   in Loop: Header=BB1_289 Depth=1
	v_mov_b32_e32 v19, 0
	v_mov_b32_e32 v20, 0
	s_mov_b64 s[4:5], 0
	s_mov_b32 s17, 0
	s_mov_b64 s[10:11], 0
	.p2align	6
.LBB1_324:                              ;   Parent Loop BB1_289 Depth=1
                                        ; =>  This Inner Loop Header: Depth=2
	v_add_co_u32 v23, vcc_lo, v21, s10
	v_add_co_ci_u32_e64 v24, null, s11, v22, vcc_lo
	s_add_u32 s10, s10, 1
	s_addc_u32 s11, s11, 0
	v_cmp_eq_u32_e32 vcc_lo, s10, v25
	global_load_ubyte v9, v[23:24], off
	v_mov_b32_e32 v24, s16
	s_waitcnt vmcnt(0)
	v_and_b32_e32 v23, 0xffff, v9
	v_lshlrev_b64 v[23:24], s4, v[23:24]
	s_add_u32 s4, s4, 8
	s_addc_u32 s5, s5, 0
	s_or_b32 s17, vcc_lo, s17
	v_or_b32_e32 v20, v24, v20
	v_or_b32_e32 v19, v23, v19
	s_andn2_b32 exec_lo, exec_lo, s17
	s_cbranch_execnz .LBB1_324
; %bb.325:                              ;   in Loop: Header=BB1_289 Depth=1
	s_or_b32 exec_lo, exec_lo, s17
.LBB1_326:                              ;   in Loop: Header=BB1_289 Depth=1
	s_or_b32 exec_lo, exec_lo, s13
	v_mov_b32_e32 v24, v22
	v_mov_b32_e32 v23, v21
                                        ; implicit-def: $vgpr25
.LBB1_327:                              ;   in Loop: Header=BB1_289 Depth=1
	s_or_saveexec_b32 s4, s12
	v_mov_b32_e32 v9, 0
	s_xor_b32 exec_lo, exec_lo, s4
	s_cbranch_execz .LBB1_329
; %bb.328:                              ;   in Loop: Header=BB1_289 Depth=1
	global_load_dwordx2 v[19:20], v[21:22], off
	v_add_nc_u32_e32 v9, -8, v25
.LBB1_329:                              ;   in Loop: Header=BB1_289 Depth=1
	s_or_b32 exec_lo, exec_lo, s4
	v_add_co_u32 v25, s4, v23, 8
	v_add_co_ci_u32_e64 v26, null, 0, v24, s4
                                        ; implicit-def: $vgpr21_vgpr22
	s_mov_b32 s4, exec_lo
	v_cmpx_gt_u32_e32 8, v9
	s_xor_b32 s12, exec_lo, s4
	s_cbranch_execz .LBB1_335
; %bb.330:                              ;   in Loop: Header=BB1_289 Depth=1
	v_mov_b32_e32 v21, 0
	v_mov_b32_e32 v22, 0
	s_mov_b32 s13, exec_lo
	v_cmpx_ne_u32_e32 0, v9
	s_cbranch_execz .LBB1_334
; %bb.331:                              ;   in Loop: Header=BB1_289 Depth=1
	v_mov_b32_e32 v21, 0
	v_mov_b32_e32 v22, 0
	s_mov_b64 s[4:5], 0
	s_mov_b32 s17, 0
	s_mov_b64 s[10:11], 0
	.p2align	6
.LBB1_332:                              ;   Parent Loop BB1_289 Depth=1
                                        ; =>  This Inner Loop Header: Depth=2
	v_add_co_u32 v25, vcc_lo, v23, s10
	v_add_co_ci_u32_e64 v26, null, s11, v24, vcc_lo
	s_add_u32 s10, s10, 1
	s_addc_u32 s11, s11, 0
	v_cmp_eq_u32_e32 vcc_lo, s10, v9
	global_load_ubyte v25, v[25:26], off
	v_mov_b32_e32 v26, s16
	s_waitcnt vmcnt(0)
	v_and_b32_e32 v25, 0xffff, v25
	v_lshlrev_b64 v[25:26], s4, v[25:26]
	s_add_u32 s4, s4, 8
	s_addc_u32 s5, s5, 0
	s_or_b32 s17, vcc_lo, s17
	v_or_b32_e32 v22, v26, v22
	v_or_b32_e32 v21, v25, v21
	s_andn2_b32 exec_lo, exec_lo, s17
	s_cbranch_execnz .LBB1_332
; %bb.333:                              ;   in Loop: Header=BB1_289 Depth=1
	s_or_b32 exec_lo, exec_lo, s17
.LBB1_334:                              ;   in Loop: Header=BB1_289 Depth=1
	s_or_b32 exec_lo, exec_lo, s13
	v_mov_b32_e32 v26, v24
	v_mov_b32_e32 v25, v23
                                        ; implicit-def: $vgpr9
.LBB1_335:                              ;   in Loop: Header=BB1_289 Depth=1
	s_or_saveexec_b32 s4, s12
	v_mov_b32_e32 v27, 0
	s_xor_b32 exec_lo, exec_lo, s4
	s_cbranch_execz .LBB1_337
; %bb.336:                              ;   in Loop: Header=BB1_289 Depth=1
	global_load_dwordx2 v[21:22], v[23:24], off
	v_add_nc_u32_e32 v27, -8, v9
.LBB1_337:                              ;   in Loop: Header=BB1_289 Depth=1
	s_or_b32 exec_lo, exec_lo, s4
	s_mov_b32 s4, exec_lo
	v_cmpx_gt_u32_e32 8, v27
	s_xor_b32 s10, exec_lo, s4
	s_cbranch_execz .LBB1_343
; %bb.338:                              ;   in Loop: Header=BB1_289 Depth=1
	v_mov_b32_e32 v23, 0
	v_mov_b32_e32 v24, 0
	s_mov_b32 s11, exec_lo
	v_cmpx_ne_u32_e32 0, v27
	s_cbranch_execz .LBB1_342
; %bb.339:                              ;   in Loop: Header=BB1_289 Depth=1
	v_mov_b32_e32 v23, 0
	v_mov_b32_e32 v24, 0
	s_mov_b64 s[4:5], 0
	s_mov_b32 s12, 0
	.p2align	6
.LBB1_340:                              ;   Parent Loop BB1_289 Depth=1
                                        ; =>  This Inner Loop Header: Depth=2
	global_load_ubyte v9, v[25:26], off
	v_mov_b32_e32 v34, s16
	v_add_nc_u32_e32 v27, -1, v27
	v_add_co_u32 v25, vcc_lo, v25, 1
	v_add_co_ci_u32_e64 v26, null, 0, v26, vcc_lo
	v_cmp_eq_u32_e32 vcc_lo, 0, v27
	s_waitcnt vmcnt(0)
	v_and_b32_e32 v33, 0xffff, v9
	v_lshlrev_b64 v[33:34], s4, v[33:34]
	s_add_u32 s4, s4, 8
	s_addc_u32 s5, s5, 0
	s_or_b32 s12, vcc_lo, s12
	v_or_b32_e32 v24, v34, v24
	v_or_b32_e32 v23, v33, v23
	s_andn2_b32 exec_lo, exec_lo, s12
	s_cbranch_execnz .LBB1_340
; %bb.341:                              ;   in Loop: Header=BB1_289 Depth=1
	s_or_b32 exec_lo, exec_lo, s12
.LBB1_342:                              ;   in Loop: Header=BB1_289 Depth=1
	s_or_b32 exec_lo, exec_lo, s11
                                        ; implicit-def: $vgpr25_vgpr26
.LBB1_343:                              ;   in Loop: Header=BB1_289 Depth=1
	s_andn2_saveexec_b32 s4, s10
	s_cbranch_execz .LBB1_345
; %bb.344:                              ;   in Loop: Header=BB1_289 Depth=1
	global_load_dwordx2 v[23:24], v[25:26], off
.LBB1_345:                              ;   in Loop: Header=BB1_289 Depth=1
	s_or_b32 exec_lo, exec_lo, s4
	v_readfirstlane_b32 s4, v37
	v_mov_b32_e32 v33, 0
	v_mov_b32_e32 v34, 0
	v_cmp_eq_u32_e64 s4, s4, v37
	s_and_saveexec_b32 s5, s4
	s_cbranch_execz .LBB1_351
; %bb.346:                              ;   in Loop: Header=BB1_289 Depth=1
	global_load_dwordx2 v[27:28], v10, s[6:7] offset:24 glc dlc
	s_waitcnt vmcnt(0)
	buffer_gl1_inv
	buffer_gl0_inv
	s_clause 0x1
	global_load_dwordx2 v[25:26], v10, s[6:7] offset:40
	global_load_dwordx2 v[33:34], v10, s[6:7]
	s_mov_b32 s10, exec_lo
	s_waitcnt vmcnt(1)
	v_and_b32_e32 v9, v26, v28
	v_and_b32_e32 v25, v25, v27
	v_mul_lo_u32 v9, v9, 24
	v_mul_hi_u32 v26, v25, 24
	v_mul_lo_u32 v25, v25, 24
	v_add_nc_u32_e32 v9, v26, v9
	s_waitcnt vmcnt(0)
	v_add_co_u32 v25, vcc_lo, v33, v25
	v_add_co_ci_u32_e64 v26, null, v34, v9, vcc_lo
	global_load_dwordx2 v[25:26], v[25:26], off glc dlc
	s_waitcnt vmcnt(0)
	global_atomic_cmpswap_x2 v[33:34], v10, v[25:28], s[6:7] offset:24 glc
	s_waitcnt vmcnt(0)
	buffer_gl1_inv
	buffer_gl0_inv
	v_cmpx_ne_u64_e64 v[33:34], v[27:28]
	s_cbranch_execz .LBB1_350
; %bb.347:                              ;   in Loop: Header=BB1_289 Depth=1
	s_mov_b32 s11, 0
	.p2align	6
.LBB1_348:                              ;   Parent Loop BB1_289 Depth=1
                                        ; =>  This Inner Loop Header: Depth=2
	s_sleep 1
	s_clause 0x1
	global_load_dwordx2 v[25:26], v10, s[6:7] offset:40
	global_load_dwordx2 v[35:36], v10, s[6:7]
	v_mov_b32_e32 v27, v33
	v_mov_b32_e32 v28, v34
	s_waitcnt vmcnt(1)
	v_and_b32_e32 v9, v25, v27
	v_and_b32_e32 v25, v26, v28
	s_waitcnt vmcnt(0)
	v_mad_u64_u32 v[33:34], null, v9, 24, v[35:36]
	v_mov_b32_e32 v9, v34
	v_mad_u64_u32 v[25:26], null, v25, 24, v[9:10]
	v_mov_b32_e32 v34, v25
	global_load_dwordx2 v[25:26], v[33:34], off glc dlc
	s_waitcnt vmcnt(0)
	global_atomic_cmpswap_x2 v[33:34], v10, v[25:28], s[6:7] offset:24 glc
	s_waitcnt vmcnt(0)
	buffer_gl1_inv
	buffer_gl0_inv
	v_cmp_eq_u64_e32 vcc_lo, v[33:34], v[27:28]
	s_or_b32 s11, vcc_lo, s11
	s_andn2_b32 exec_lo, exec_lo, s11
	s_cbranch_execnz .LBB1_348
; %bb.349:                              ;   in Loop: Header=BB1_289 Depth=1
	s_or_b32 exec_lo, exec_lo, s11
.LBB1_350:                              ;   in Loop: Header=BB1_289 Depth=1
	s_or_b32 exec_lo, exec_lo, s10
.LBB1_351:                              ;   in Loop: Header=BB1_289 Depth=1
	s_or_b32 exec_lo, exec_lo, s5
	s_clause 0x1
	global_load_dwordx2 v[35:36], v10, s[6:7] offset:40
	global_load_dwordx4 v[25:28], v10, s[6:7]
	v_readfirstlane_b32 s11, v34
	v_readfirstlane_b32 s10, v33
	s_mov_b32 s5, exec_lo
	s_waitcnt vmcnt(1)
	v_readfirstlane_b32 s12, v35
	v_readfirstlane_b32 s13, v36
	s_and_b64 s[12:13], s[12:13], s[10:11]
	s_mul_i32 s17, s13, 24
	s_mul_hi_u32 s18, s12, 24
	s_mul_i32 s19, s12, 24
	s_add_i32 s18, s18, s17
	s_waitcnt vmcnt(0)
	v_add_co_u32 v33, vcc_lo, v25, s19
	v_add_co_ci_u32_e64 v34, null, s18, v26, vcc_lo
	s_and_saveexec_b32 s17, s4
	s_cbranch_execz .LBB1_353
; %bb.352:                              ;   in Loop: Header=BB1_289 Depth=1
	v_mov_b32_e32 v9, s5
	global_store_dwordx4 v[33:34], v[9:12], off offset:8
.LBB1_353:                              ;   in Loop: Header=BB1_289 Depth=1
	s_or_b32 exec_lo, exec_lo, s17
	v_cmp_gt_u64_e32 vcc_lo, 57, v[29:30]
	s_lshl_b64 s[12:13], s[12:13], 12
	v_and_b32_e32 v0, 0xffffff1f, v0
	v_lshl_add_u32 v35, v31, 2, 28
	v_cndmask_b32_e32 v9, 0, v4, vcc_lo
	v_add_co_u32 v27, vcc_lo, v27, s12
	v_add_co_ci_u32_e64 v28, null, s13, v28, vcc_lo
	v_or_b32_e32 v0, v0, v9
	v_readfirstlane_b32 s12, v27
	v_readfirstlane_b32 s13, v28
	v_and_or_b32 v0, 0x1e0, v35, v0
	global_store_dwordx4 v38, v[13:16], s[12:13] offset:16
	global_store_dwordx4 v38, v[17:20], s[12:13] offset:32
	global_store_dwordx4 v38, v[0:3], s[12:13]
	global_store_dwordx4 v38, v[21:24], s[12:13] offset:48
	s_and_saveexec_b32 s5, s4
	s_cbranch_execz .LBB1_361
; %bb.354:                              ;   in Loop: Header=BB1_289 Depth=1
	s_clause 0x1
	global_load_dwordx2 v[17:18], v10, s[6:7] offset:32 glc dlc
	global_load_dwordx2 v[0:1], v10, s[6:7] offset:40
	v_mov_b32_e32 v15, s10
	v_mov_b32_e32 v16, s11
	s_waitcnt vmcnt(0)
	v_readfirstlane_b32 s12, v0
	v_readfirstlane_b32 s13, v1
	s_and_b64 s[12:13], s[12:13], s[10:11]
	s_mul_i32 s13, s13, 24
	s_mul_hi_u32 s17, s12, 24
	s_mul_i32 s12, s12, 24
	s_add_i32 s17, s17, s13
	v_add_co_u32 v13, vcc_lo, v25, s12
	v_add_co_ci_u32_e64 v14, null, s17, v26, vcc_lo
	s_mov_b32 s12, exec_lo
	global_store_dwordx2 v[13:14], v[17:18], off
	s_waitcnt_vscnt null, 0x0
	global_atomic_cmpswap_x2 v[2:3], v10, v[15:18], s[6:7] offset:32 glc
	s_waitcnt vmcnt(0)
	v_cmpx_ne_u64_e64 v[2:3], v[17:18]
	s_cbranch_execz .LBB1_357
; %bb.355:                              ;   in Loop: Header=BB1_289 Depth=1
	s_mov_b32 s13, 0
.LBB1_356:                              ;   Parent Loop BB1_289 Depth=1
                                        ; =>  This Inner Loop Header: Depth=2
	v_mov_b32_e32 v0, s10
	v_mov_b32_e32 v1, s11
	s_sleep 1
	global_store_dwordx2 v[13:14], v[2:3], off
	s_waitcnt_vscnt null, 0x0
	global_atomic_cmpswap_x2 v[0:1], v10, v[0:3], s[6:7] offset:32 glc
	s_waitcnt vmcnt(0)
	v_cmp_eq_u64_e32 vcc_lo, v[0:1], v[2:3]
	v_mov_b32_e32 v3, v1
	v_mov_b32_e32 v2, v0
	s_or_b32 s13, vcc_lo, s13
	s_andn2_b32 exec_lo, exec_lo, s13
	s_cbranch_execnz .LBB1_356
.LBB1_357:                              ;   in Loop: Header=BB1_289 Depth=1
	s_or_b32 exec_lo, exec_lo, s12
	global_load_dwordx2 v[0:1], v10, s[6:7] offset:16
	s_mov_b32 s13, exec_lo
	s_mov_b32 s12, exec_lo
	v_mbcnt_lo_u32_b32 v2, s13, 0
	v_cmpx_eq_u32_e32 0, v2
	s_cbranch_execz .LBB1_359
; %bb.358:                              ;   in Loop: Header=BB1_289 Depth=1
	s_bcnt1_i32_b32 s13, s13
	v_mov_b32_e32 v9, s13
	s_waitcnt vmcnt(0)
	global_atomic_add_x2 v[0:1], v[9:10], off offset:8
.LBB1_359:                              ;   in Loop: Header=BB1_289 Depth=1
	s_or_b32 exec_lo, exec_lo, s12
	s_waitcnt vmcnt(0)
	global_load_dwordx2 v[2:3], v[0:1], off offset:16
	s_waitcnt vmcnt(0)
	v_cmp_eq_u64_e32 vcc_lo, 0, v[2:3]
	s_cbranch_vccnz .LBB1_361
; %bb.360:                              ;   in Loop: Header=BB1_289 Depth=1
	global_load_dword v9, v[0:1], off offset:24
	s_waitcnt vmcnt(0)
	v_readfirstlane_b32 s12, v9
	s_waitcnt_vscnt null, 0x0
	global_store_dwordx2 v[2:3], v[9:10], off
	s_and_b32 m0, s12, 0x7fffff
	s_sendmsg sendmsg(MSG_INTERRUPT)
.LBB1_361:                              ;   in Loop: Header=BB1_289 Depth=1
	s_or_b32 exec_lo, exec_lo, s5
	v_add_co_u32 v0, vcc_lo, v27, v38
	v_add_co_ci_u32_e64 v1, null, 0, v28, vcc_lo
	s_branch .LBB1_365
	.p2align	6
.LBB1_362:                              ;   in Loop: Header=BB1_365 Depth=2
	s_or_b32 exec_lo, exec_lo, s5
	v_readfirstlane_b32 s5, v2
	s_cmp_eq_u32 s5, 0
	s_cbranch_scc1 .LBB1_364
; %bb.363:                              ;   in Loop: Header=BB1_365 Depth=2
	s_sleep 1
	s_cbranch_execnz .LBB1_365
	s_branch .LBB1_367
	.p2align	6
.LBB1_364:                              ;   in Loop: Header=BB1_289 Depth=1
	s_branch .LBB1_367
.LBB1_365:                              ;   Parent Loop BB1_289 Depth=1
                                        ; =>  This Inner Loop Header: Depth=2
	v_mov_b32_e32 v2, 1
	s_and_saveexec_b32 s5, s4
	s_cbranch_execz .LBB1_362
; %bb.366:                              ;   in Loop: Header=BB1_365 Depth=2
	global_load_dword v2, v[33:34], off offset:20 glc dlc
	s_waitcnt vmcnt(0)
	buffer_gl1_inv
	buffer_gl0_inv
	v_and_b32_e32 v2, 1, v2
	s_branch .LBB1_362
.LBB1_367:                              ;   in Loop: Header=BB1_289 Depth=1
	global_load_dwordx2 v[0:1], v[0:1], off
	s_and_saveexec_b32 s12, s4
	s_cbranch_execz .LBB1_288
; %bb.368:                              ;   in Loop: Header=BB1_289 Depth=1
	s_clause 0x2
	global_load_dwordx2 v[2:3], v10, s[6:7] offset:40
	global_load_dwordx2 v[17:18], v10, s[6:7] offset:24 glc dlc
	global_load_dwordx2 v[13:14], v10, s[6:7]
	s_waitcnt vmcnt(2)
	v_readfirstlane_b32 s18, v2
	v_readfirstlane_b32 s19, v3
	s_add_u32 s13, s18, 1
	s_addc_u32 s17, s19, 0
	s_add_u32 s4, s13, s10
	s_addc_u32 s5, s17, s11
	s_cmp_eq_u64 s[4:5], 0
	s_cselect_b32 s5, s17, s5
	s_cselect_b32 s4, s13, s4
	v_mov_b32_e32 v16, s5
	s_and_b64 s[10:11], s[4:5], s[18:19]
	v_mov_b32_e32 v15, s4
	s_mul_i32 s11, s11, 24
	s_mul_hi_u32 s13, s10, 24
	s_mul_i32 s10, s10, 24
	s_add_i32 s13, s13, s11
	s_waitcnt vmcnt(0)
	v_add_co_u32 v2, vcc_lo, v13, s10
	v_add_co_ci_u32_e64 v3, null, s13, v14, vcc_lo
	global_store_dwordx2 v[2:3], v[17:18], off
	s_waitcnt_vscnt null, 0x0
	global_atomic_cmpswap_x2 v[15:16], v10, v[15:18], s[6:7] offset:24 glc
	s_waitcnt vmcnt(0)
	v_cmp_ne_u64_e32 vcc_lo, v[15:16], v[17:18]
	s_and_b32 exec_lo, exec_lo, vcc_lo
	s_cbranch_execz .LBB1_288
; %bb.369:                              ;   in Loop: Header=BB1_289 Depth=1
	s_mov_b32 s10, 0
.LBB1_370:                              ;   Parent Loop BB1_289 Depth=1
                                        ; =>  This Inner Loop Header: Depth=2
	v_mov_b32_e32 v13, s4
	v_mov_b32_e32 v14, s5
	s_sleep 1
	global_store_dwordx2 v[2:3], v[15:16], off
	s_waitcnt_vscnt null, 0x0
	global_atomic_cmpswap_x2 v[13:14], v10, v[13:16], s[6:7] offset:24 glc
	s_waitcnt vmcnt(0)
	v_cmp_eq_u64_e32 vcc_lo, v[13:14], v[15:16]
	v_mov_b32_e32 v16, v14
	v_mov_b32_e32 v15, v13
	s_or_b32 s10, vcc_lo, s10
	s_andn2_b32 exec_lo, exec_lo, s10
	s_cbranch_execnz .LBB1_370
	s_branch .LBB1_288
.LBB1_371:
	s_or_b32 exec_lo, exec_lo, s15
                                        ; implicit-def: $vgpr38
                                        ; implicit-def: $vgpr37
.LBB1_372:
	s_andn2_saveexec_b32 s14, s14
	s_cbranch_execz .LBB1_400
; %bb.373:
	v_readfirstlane_b32 s4, v37
	v_mov_b32_e32 v3, 0
	v_mov_b32_e32 v4, 0
	v_cmp_eq_u32_e64 s4, s4, v37
	s_and_saveexec_b32 s5, s4
	s_cbranch_execz .LBB1_379
; %bb.374:
	v_mov_b32_e32 v2, 0
	s_mov_b32 s10, exec_lo
	global_load_dwordx2 v[5:6], v2, s[6:7] offset:24 glc dlc
	s_waitcnt vmcnt(0)
	buffer_gl1_inv
	buffer_gl0_inv
	s_clause 0x1
	global_load_dwordx2 v[3:4], v2, s[6:7] offset:40
	global_load_dwordx2 v[9:10], v2, s[6:7]
	s_waitcnt vmcnt(1)
	v_and_b32_e32 v4, v4, v6
	v_and_b32_e32 v3, v3, v5
	v_mul_lo_u32 v4, v4, 24
	v_mul_hi_u32 v11, v3, 24
	v_mul_lo_u32 v3, v3, 24
	v_add_nc_u32_e32 v4, v11, v4
	s_waitcnt vmcnt(0)
	v_add_co_u32 v3, vcc_lo, v9, v3
	v_add_co_ci_u32_e64 v4, null, v10, v4, vcc_lo
	global_load_dwordx2 v[3:4], v[3:4], off glc dlc
	s_waitcnt vmcnt(0)
	global_atomic_cmpswap_x2 v[3:4], v2, v[3:6], s[6:7] offset:24 glc
	s_waitcnt vmcnt(0)
	buffer_gl1_inv
	buffer_gl0_inv
	v_cmpx_ne_u64_e64 v[3:4], v[5:6]
	s_cbranch_execz .LBB1_378
; %bb.375:
	s_mov_b32 s11, 0
	.p2align	6
.LBB1_376:                              ; =>This Inner Loop Header: Depth=1
	s_sleep 1
	s_clause 0x1
	global_load_dwordx2 v[9:10], v2, s[6:7] offset:40
	global_load_dwordx2 v[11:12], v2, s[6:7]
	v_mov_b32_e32 v6, v4
	v_mov_b32_e32 v5, v3
	s_waitcnt vmcnt(1)
	v_and_b32_e32 v3, v9, v5
	v_and_b32_e32 v9, v10, v6
	s_waitcnt vmcnt(0)
	v_mad_u64_u32 v[3:4], null, v3, 24, v[11:12]
	v_mad_u64_u32 v[9:10], null, v9, 24, v[4:5]
	v_mov_b32_e32 v4, v9
	global_load_dwordx2 v[3:4], v[3:4], off glc dlc
	s_waitcnt vmcnt(0)
	global_atomic_cmpswap_x2 v[3:4], v2, v[3:6], s[6:7] offset:24 glc
	s_waitcnt vmcnt(0)
	buffer_gl1_inv
	buffer_gl0_inv
	v_cmp_eq_u64_e32 vcc_lo, v[3:4], v[5:6]
	s_or_b32 s11, vcc_lo, s11
	s_andn2_b32 exec_lo, exec_lo, s11
	s_cbranch_execnz .LBB1_376
; %bb.377:
	s_or_b32 exec_lo, exec_lo, s11
.LBB1_378:
	s_or_b32 exec_lo, exec_lo, s10
.LBB1_379:
	s_or_b32 exec_lo, exec_lo, s5
	v_mov_b32_e32 v2, 0
	v_readfirstlane_b32 s11, v4
	v_readfirstlane_b32 s10, v3
	s_mov_b32 s5, exec_lo
	s_clause 0x1
	global_load_dwordx2 v[5:6], v2, s[6:7] offset:40
	global_load_dwordx4 v[9:12], v2, s[6:7]
	s_waitcnt vmcnt(1)
	v_readfirstlane_b32 s12, v5
	v_readfirstlane_b32 s13, v6
	s_and_b64 s[12:13], s[12:13], s[10:11]
	s_mul_i32 s15, s13, 24
	s_mul_hi_u32 s16, s12, 24
	s_mul_i32 s17, s12, 24
	s_add_i32 s16, s16, s15
	s_waitcnt vmcnt(0)
	v_add_co_u32 v4, vcc_lo, v9, s17
	v_add_co_ci_u32_e64 v5, null, s16, v10, vcc_lo
	s_and_saveexec_b32 s15, s4
	s_cbranch_execz .LBB1_381
; %bb.380:
	v_mov_b32_e32 v13, s5
	v_mov_b32_e32 v14, v2
	;; [unrolled: 1-line block ×4, first 2 shown]
	global_store_dwordx4 v[4:5], v[13:16], off offset:8
.LBB1_381:
	s_or_b32 exec_lo, exec_lo, s15
	s_lshl_b64 s[12:13], s[12:13], 12
	s_mov_b32 s16, 0
	v_add_co_u32 v6, vcc_lo, v11, s12
	v_add_co_ci_u32_e64 v12, null, s13, v12, vcc_lo
	s_mov_b32 s17, s16
	v_add_co_u32 v11, vcc_lo, v6, v38
	s_mov_b32 s18, s16
	s_mov_b32 s19, s16
	v_and_or_b32 v0, 0xffffff1f, v0, 32
	v_mov_b32_e32 v3, v2
	v_readfirstlane_b32 s12, v6
	v_readfirstlane_b32 s13, v12
	v_mov_b32_e32 v13, s16
	v_add_co_ci_u32_e64 v12, null, 0, v12, vcc_lo
	v_mov_b32_e32 v14, s17
	v_mov_b32_e32 v15, s18
	;; [unrolled: 1-line block ×3, first 2 shown]
	global_store_dwordx4 v38, v[0:3], s[12:13]
	global_store_dwordx4 v38, v[13:16], s[12:13] offset:16
	global_store_dwordx4 v38, v[13:16], s[12:13] offset:32
	;; [unrolled: 1-line block ×3, first 2 shown]
	s_and_saveexec_b32 s5, s4
	s_cbranch_execz .LBB1_389
; %bb.382:
	v_mov_b32_e32 v6, 0
	v_mov_b32_e32 v13, s10
	;; [unrolled: 1-line block ×3, first 2 shown]
	s_clause 0x1
	global_load_dwordx2 v[15:16], v6, s[6:7] offset:32 glc dlc
	global_load_dwordx2 v[0:1], v6, s[6:7] offset:40
	s_waitcnt vmcnt(0)
	v_readfirstlane_b32 s12, v0
	v_readfirstlane_b32 s13, v1
	s_and_b64 s[12:13], s[12:13], s[10:11]
	s_mul_i32 s13, s13, 24
	s_mul_hi_u32 s15, s12, 24
	s_mul_i32 s12, s12, 24
	s_add_i32 s15, s15, s13
	v_add_co_u32 v9, vcc_lo, v9, s12
	v_add_co_ci_u32_e64 v10, null, s15, v10, vcc_lo
	s_mov_b32 s12, exec_lo
	global_store_dwordx2 v[9:10], v[15:16], off
	s_waitcnt_vscnt null, 0x0
	global_atomic_cmpswap_x2 v[2:3], v6, v[13:16], s[6:7] offset:32 glc
	s_waitcnt vmcnt(0)
	v_cmpx_ne_u64_e64 v[2:3], v[15:16]
	s_cbranch_execz .LBB1_385
; %bb.383:
	s_mov_b32 s13, 0
.LBB1_384:                              ; =>This Inner Loop Header: Depth=1
	v_mov_b32_e32 v0, s10
	v_mov_b32_e32 v1, s11
	s_sleep 1
	global_store_dwordx2 v[9:10], v[2:3], off
	s_waitcnt_vscnt null, 0x0
	global_atomic_cmpswap_x2 v[0:1], v6, v[0:3], s[6:7] offset:32 glc
	s_waitcnt vmcnt(0)
	v_cmp_eq_u64_e32 vcc_lo, v[0:1], v[2:3]
	v_mov_b32_e32 v3, v1
	v_mov_b32_e32 v2, v0
	s_or_b32 s13, vcc_lo, s13
	s_andn2_b32 exec_lo, exec_lo, s13
	s_cbranch_execnz .LBB1_384
.LBB1_385:
	s_or_b32 exec_lo, exec_lo, s12
	v_mov_b32_e32 v3, 0
	s_mov_b32 s13, exec_lo
	s_mov_b32 s12, exec_lo
	v_mbcnt_lo_u32_b32 v2, s13, 0
	global_load_dwordx2 v[0:1], v3, s[6:7] offset:16
	v_cmpx_eq_u32_e32 0, v2
	s_cbranch_execz .LBB1_387
; %bb.386:
	s_bcnt1_i32_b32 s13, s13
	v_mov_b32_e32 v2, s13
	s_waitcnt vmcnt(0)
	global_atomic_add_x2 v[0:1], v[2:3], off offset:8
.LBB1_387:
	s_or_b32 exec_lo, exec_lo, s12
	s_waitcnt vmcnt(0)
	global_load_dwordx2 v[2:3], v[0:1], off offset:16
	s_waitcnt vmcnt(0)
	v_cmp_eq_u64_e32 vcc_lo, 0, v[2:3]
	s_cbranch_vccnz .LBB1_389
; %bb.388:
	global_load_dword v0, v[0:1], off offset:24
	v_mov_b32_e32 v1, 0
	s_waitcnt vmcnt(0)
	v_readfirstlane_b32 s12, v0
	s_waitcnt_vscnt null, 0x0
	global_store_dwordx2 v[2:3], v[0:1], off
	s_and_b32 m0, s12, 0x7fffff
	s_sendmsg sendmsg(MSG_INTERRUPT)
.LBB1_389:
	s_or_b32 exec_lo, exec_lo, s5
	s_branch .LBB1_393
	.p2align	6
.LBB1_390:                              ;   in Loop: Header=BB1_393 Depth=1
	s_or_b32 exec_lo, exec_lo, s5
	v_readfirstlane_b32 s5, v0
	s_cmp_eq_u32 s5, 0
	s_cbranch_scc1 .LBB1_392
; %bb.391:                              ;   in Loop: Header=BB1_393 Depth=1
	s_sleep 1
	s_cbranch_execnz .LBB1_393
	s_branch .LBB1_395
	.p2align	6
.LBB1_392:
	s_branch .LBB1_395
.LBB1_393:                              ; =>This Inner Loop Header: Depth=1
	v_mov_b32_e32 v0, 1
	s_and_saveexec_b32 s5, s4
	s_cbranch_execz .LBB1_390
; %bb.394:                              ;   in Loop: Header=BB1_393 Depth=1
	global_load_dword v0, v[4:5], off offset:20 glc dlc
	s_waitcnt vmcnt(0)
	buffer_gl1_inv
	buffer_gl0_inv
	v_and_b32_e32 v0, 1, v0
	s_branch .LBB1_390
.LBB1_395:
	global_load_dwordx2 v[0:1], v[11:12], off
	s_and_saveexec_b32 s12, s4
	s_cbranch_execz .LBB1_399
; %bb.396:
	v_mov_b32_e32 v6, 0
	s_clause 0x2
	global_load_dwordx2 v[2:3], v6, s[6:7] offset:40
	global_load_dwordx2 v[13:14], v6, s[6:7] offset:24 glc dlc
	global_load_dwordx2 v[4:5], v6, s[6:7]
	s_waitcnt vmcnt(2)
	v_readfirstlane_b32 s16, v2
	v_readfirstlane_b32 s17, v3
	s_add_u32 s13, s16, 1
	s_addc_u32 s15, s17, 0
	s_add_u32 s4, s13, s10
	s_addc_u32 s5, s15, s11
	s_cmp_eq_u64 s[4:5], 0
	s_cselect_b32 s5, s15, s5
	s_cselect_b32 s4, s13, s4
	v_mov_b32_e32 v12, s5
	s_and_b64 s[10:11], s[4:5], s[16:17]
	v_mov_b32_e32 v11, s4
	s_mul_i32 s11, s11, 24
	s_mul_hi_u32 s13, s10, 24
	s_mul_i32 s10, s10, 24
	s_add_i32 s13, s13, s11
	s_waitcnt vmcnt(0)
	v_add_co_u32 v9, vcc_lo, v4, s10
	v_add_co_ci_u32_e64 v10, null, s13, v5, vcc_lo
	global_store_dwordx2 v[9:10], v[13:14], off
	s_waitcnt_vscnt null, 0x0
	global_atomic_cmpswap_x2 v[4:5], v6, v[11:14], s[6:7] offset:24 glc
	s_waitcnt vmcnt(0)
	v_cmp_ne_u64_e32 vcc_lo, v[4:5], v[13:14]
	s_and_b32 exec_lo, exec_lo, vcc_lo
	s_cbranch_execz .LBB1_399
; %bb.397:
	s_mov_b32 s10, 0
.LBB1_398:                              ; =>This Inner Loop Header: Depth=1
	v_mov_b32_e32 v2, s4
	v_mov_b32_e32 v3, s5
	s_sleep 1
	global_store_dwordx2 v[9:10], v[4:5], off
	s_waitcnt_vscnt null, 0x0
	global_atomic_cmpswap_x2 v[2:3], v6, v[2:5], s[6:7] offset:24 glc
	s_waitcnt vmcnt(0)
	v_cmp_eq_u64_e32 vcc_lo, v[2:3], v[4:5]
	v_mov_b32_e32 v5, v3
	v_mov_b32_e32 v4, v2
	s_or_b32 s10, vcc_lo, s10
	s_andn2_b32 exec_lo, exec_lo, s10
	s_cbranch_execnz .LBB1_398
.LBB1_399:
	s_or_b32 exec_lo, exec_lo, s12
.LBB1_400:
	s_or_b32 exec_lo, exec_lo, s14
	v_mov_b32_e32 v2, v7
	v_mov_b32_e32 v3, v8
	s_mov_b32 s4, 0
.LBB1_401:                              ; =>This Inner Loop Header: Depth=1
	global_load_ubyte v6, v[2:3], off
	v_add_co_u32 v4, vcc_lo, v2, 1
	v_add_co_ci_u32_e64 v5, null, 0, v3, vcc_lo
	v_mov_b32_e32 v2, v4
	v_mov_b32_e32 v3, v5
	s_waitcnt vmcnt(0)
	v_cmp_eq_u16_e32 vcc_lo, 0, v6
	s_or_b32 s4, vcc_lo, s4
	s_andn2_b32 exec_lo, exec_lo, s4
	s_cbranch_execnz .LBB1_401
; %bb.402:
	s_or_b32 exec_lo, exec_lo, s4
	v_sub_nc_u32_e32 v4, v4, v7
	v_mov_b32_e32 v2, v7
	v_mov_b32_e32 v3, v8
	;; [unrolled: 1-line block ×3, first 2 shown]
	s_getpc_b64 s[4:5]
	s_add_u32 s4, s4, __ockl_fprintf_append_string_n@rel32@lo+4
	s_addc_u32 s5, s5, __ockl_fprintf_append_string_n@rel32@hi+12
	v_ashrrev_i32_e32 v5, 31, v4
	s_swappc_b64 s[30:31], s[4:5]
	s_trap 2
.Lfunc_end1:
	.size	__assert_fail, .Lfunc_end1-__assert_fail
                                        ; -- End function
	.set .L__assert_fail.num_vgpr, max(52, .L__ockl_fprintf_append_string_n.num_vgpr)
	.set .L__assert_fail.num_agpr, max(0, .L__ockl_fprintf_append_string_n.num_agpr)
	.set .L__assert_fail.numbered_sgpr, max(34, .L__ockl_fprintf_append_string_n.numbered_sgpr)
	.set .L__assert_fail.num_named_barrier, max(0, .L__ockl_fprintf_append_string_n.num_named_barrier)
	.set .L__assert_fail.private_seg_size, 64+max(.L__ockl_fprintf_append_string_n.private_seg_size)
	.set .L__assert_fail.uses_vcc, or(1, .L__ockl_fprintf_append_string_n.uses_vcc)
	.set .L__assert_fail.uses_flat_scratch, or(0, .L__ockl_fprintf_append_string_n.uses_flat_scratch)
	.set .L__assert_fail.has_dyn_sized_stack, or(0, .L__ockl_fprintf_append_string_n.has_dyn_sized_stack)
	.set .L__assert_fail.has_recursion, or(0, .L__ockl_fprintf_append_string_n.has_recursion)
	.set .L__assert_fail.has_indirect_call, or(0, .L__ockl_fprintf_append_string_n.has_indirect_call)
	.section	.AMDGPU.csdata,"",@progbits
; Function info:
; codeLenInByte = 16220
; TotalNumSgprs: 36
; NumVgprs: 52
; ScratchSize: 64
; MemoryBound: 0
	.text
	.p2align	2                               ; -- Begin function _ZN3sop14minatoIsop5RecEjjiPNS_3SopEP7VecsMemIjLi8192EE
	.type	_ZN3sop14minatoIsop5RecEjjiPNS_3SopEP7VecsMemIjLi8192EE,@function
_ZN3sop14minatoIsop5RecEjjiPNS_3SopEP7VecsMemIjLi8192EE: ; @_ZN3sop14minatoIsop5RecEjjiPNS_3SopEP7VecsMemIjLi8192EE
; %bb.0:
	s_waitcnt vmcnt(0) expcnt(0) lgkmcnt(0)
	s_mov_b32 s4, s33
	s_mov_b32 s33, s32
	s_or_saveexec_b32 s5, -1
	buffer_store_dword v59, off, s[0:3], s33 offset:96 ; 4-byte Folded Spill
	s_mov_b32 exec_lo, s5
	v_writelane_b32 v59, s4, 14
	s_addk_i32 s32, 0xe00
	buffer_store_dword v40, off, s[0:3], s33 offset:40 ; 4-byte Folded Spill
	buffer_store_dword v41, off, s[0:3], s33 offset:36 ; 4-byte Folded Spill
	;; [unrolled: 1-line block ×10, first 2 shown]
	buffer_store_dword v58, off, s[0:3], s33 ; 4-byte Folded Spill
	v_writelane_b32 v59, s34, 0
	v_writelane_b32 v59, s35, 1
	;; [unrolled: 1-line block ×14, first 2 shown]
	v_mov_b32_e32 v45, v6
	v_mov_b32_e32 v44, v5
	;; [unrolled: 1-line block ×4, first 2 shown]
	v_bfi_b32 v3, v1, 0, v0
	s_mov_b64 s[34:35], s[8:9]
	s_mov_b32 s21, 0
	s_mov_b32 s36, 0
	s_mov_b32 s4, exec_lo
	v_cmpx_ne_u32_e32 0, v3
	s_xor_b32 s22, exec_lo, s4
                                        ; implicit-def: $vgpr65_vgpr66
	s_cbranch_execz .LBB2_2
; %bb.1:
	s_getpc_b64 s[4:5]
	s_add_u32 s4, s4, .str.27@rel32@lo+4
	s_addc_u32 s5, s5, .str.27@rel32@hi+12
	s_getpc_b64 s[6:7]
	s_add_u32 s6, s6, .str.16@rel32@lo+4
	s_addc_u32 s7, s7, .str.16@rel32@hi+12
	s_getpc_b64 s[8:9]
	s_add_u32 s8, s8, __PRETTY_FUNCTION__._ZN3sop14minatoIsop5RecEjjiPNS_3SopEP7VecsMemIjLi8192EE@rel32@lo+4
	s_addc_u32 s9, s9, __PRETTY_FUNCTION__._ZN3sop14minatoIsop5RecEjjiPNS_3SopEP7VecsMemIjLi8192EE@rel32@hi+12
	v_mov_b32_e32 v0, s4
	v_mov_b32_e32 v1, s5
	;; [unrolled: 1-line block ×7, first 2 shown]
	s_getpc_b64 s[10:11]
	s_add_u32 s10, s10, __assert_fail@rel32@lo+4
	s_addc_u32 s11, s11, __assert_fail@rel32@hi+12
	s_mov_b64 s[8:9], s[34:35]
	s_swappc_b64 s[30:31], s[10:11]
	s_mov_b32 s36, exec_lo
                                        ; implicit-def: $vgpr0
                                        ; implicit-def: $vgpr44
                                        ; implicit-def: $vgpr1
                                        ; implicit-def: $vgpr2
.LBB2_2:
	s_or_saveexec_b32 s37, s22
	s_mov_b32 s4, 0
                                        ; implicit-def: $vgpr64
                                        ; implicit-def: $vgpr52
	s_xor_b32 exec_lo, exec_lo, s37
	s_cbranch_execz .LBB2_7
; %bb.3:
	s_mov_b32 s5, -1
	s_mov_b32 s6, s36
	s_mov_b32 s38, exec_lo
                                        ; implicit-def: $vgpr64
                                        ; implicit-def: $vgpr52
	v_cmpx_ne_u32_e32 0, v0
	s_cbranch_execz .LBB2_406
; %bb.4:
	s_mov_b32 s4, -1
	s_mov_b32 s22, 0
	s_mov_b32 s21, s36
                                        ; implicit-def: $vgpr64
                                        ; implicit-def: $vgpr52
	s_mov_b32 s5, exec_lo
	v_cmpx_ne_u32_e32 -1, v1
	s_xor_b32 s39, exec_lo, s5
	s_cbranch_execz .LBB2_266
; %bb.5:
	s_mov_b32 s21, 0
	s_mov_b32 s12, exec_lo
                                        ; implicit-def: $vgpr54
                                        ; implicit-def: $vgpr43
                                        ; implicit-def: $vgpr53
                                        ; implicit-def: $vgpr55
	v_cmpx_lt_i32_e32 0, v2
	s_cbranch_execz .LBB2_46
; %bb.6:
	v_lshrrev_b32_e32 v3, 8, v0
	v_lshrrev_b32_e32 v4, 4, v0
	;; [unrolled: 1-line block ×5, first 2 shown]
	v_xor_b32_e32 v3, v3, v0
	v_xor_b32_e32 v4, v4, v0
	;; [unrolled: 1-line block ×4, first 2 shown]
	v_lshrrev_b32_e32 v55, 16, v0
	v_and_b32_e32 v3, 0xff00ff, v3
	v_and_b32_e32 v4, 0xf0f0f0f, v4
	;; [unrolled: 1-line block ×3, first 2 shown]
	v_lshrrev_b32_e32 v53, 16, v1
	v_cmp_eq_u32_sdwa s13, v0, v55 src0_sel:WORD_0 src1_sel:DWORD
	v_cmp_eq_u32_e32 vcc_lo, 0, v3
	v_cmp_eq_u32_e64 s4, 0, v4
	v_cmp_eq_u32_e64 s5, 0, v5
	v_and_b32_e32 v3, 0x55555555, v6
	v_lshrrev_b32_e32 v4, 8, v1
	v_lshrrev_b32_e32 v5, 4, v1
	;; [unrolled: 1-line block ×3, first 2 shown]
	v_cmp_eq_u32_sdwa s14, v1, v53 src0_sel:WORD_0 src1_sel:DWORD
	v_cmp_eq_u32_e64 s6, 0, v3
	v_xor_b32_e32 v3, v4, v1
	v_xor_b32_e32 v4, v5, v1
	;; [unrolled: 1-line block ×4, first 2 shown]
	s_mov_b32 s16, 0
	v_and_b32_e32 v3, 0xff00ff, v3
	v_and_b32_e32 v4, 0xf0f0f0f, v4
	;; [unrolled: 1-line block ×4, first 2 shown]
                                        ; implicit-def: $sgpr15
	v_cmp_eq_u32_e64 s7, 0, v3
	v_cmp_eq_u32_e64 s8, 0, v4
	;; [unrolled: 1-line block ×4, first 2 shown]
	s_branch .LBB2_11
.LBB2_7:
	s_or_b32 exec_lo, exec_lo, s37
	s_and_saveexec_b32 s5, s36
	s_xor_b32 s5, exec_lo, s5
	s_cbranch_execz .LBB2_407
.LBB2_8:
	; divergent unreachable
	s_or_b32 exec_lo, exec_lo, s5
	s_and_saveexec_b32 s5, s21
	s_cbranch_execnz .LBB2_408
	s_branch .LBB2_409
.LBB2_9:                                ;   in Loop: Header=BB2_11 Depth=1
	s_or_b32 exec_lo, exec_lo, s20
	v_mov_b32_e32 v43, v2
	s_orn2_b32 s19, s19, exec_lo
	s_orn2_b32 s11, s11, exec_lo
.LBB2_10:                               ;   in Loop: Header=BB2_11 Depth=1
	s_or_b32 exec_lo, exec_lo, s17
	s_xor_b32 s17, s19, -1
	s_and_b32 s11, exec_lo, s11
	s_or_b32 s16, s11, s16
	s_andn2_b32 s11, s15, exec_lo
	s_and_b32 s15, s17, exec_lo
	s_or_b32 s15, s11, s15
	s_andn2_b32 exec_lo, exec_lo, s16
	s_cbranch_execz .LBB2_209
.LBB2_11:                               ; =>This Inner Loop Header: Depth=1
	v_mov_b32_e32 v3, v2
	s_mov_b32 s18, 0
	s_mov_b32 s17, exec_lo
                                        ; implicit-def: $vgpr43
                                        ; implicit-def: $vgpr54
	v_add_nc_u32_e32 v2, -1, v3
	v_cmpx_lt_i32_e32 3, v3
	s_xor_b32 s17, exec_lo, s17
	s_cbranch_execz .LBB2_17
; %bb.12:                               ;   in Loop: Header=BB2_11 Depth=1
	v_cmp_lt_i32_e64 s11, 4, v3
	s_and_saveexec_b32 s19, s11
	s_xor_b32 s11, exec_lo, s19
; %bb.13:                               ;   in Loop: Header=BB2_11 Depth=1
	s_and_b32 s18, s13, exec_lo
; %bb.14:                               ;   in Loop: Header=BB2_11 Depth=1
	s_or_saveexec_b32 s11, s11
	v_mov_b32_e32 v54, 5
	v_mov_b32_e32 v43, 4
	s_xor_b32 exec_lo, exec_lo, s11
; %bb.15:                               ;   in Loop: Header=BB2_11 Depth=1
	v_mov_b32_e32 v54, 4
	v_mov_b32_e32 v43, v2
	s_andn2_b32 s18, s18, exec_lo
	s_and_b32 s19, vcc_lo, exec_lo
	s_or_b32 s18, s18, s19
; %bb.16:                               ;   in Loop: Header=BB2_11 Depth=1
	s_or_b32 exec_lo, exec_lo, s11
	s_and_b32 s18, s18, exec_lo
.LBB2_17:                               ;   in Loop: Header=BB2_11 Depth=1
	s_andn2_saveexec_b32 s17, s17
	s_cbranch_execz .LBB2_27
; %bb.18:                               ;   in Loop: Header=BB2_11 Depth=1
	v_cmp_lt_i32_e64 s11, 2, v3
	s_mov_b32 s19, s18
	s_and_saveexec_b32 s20, s11
	s_xor_b32 s11, exec_lo, s20
; %bb.19:                               ;   in Loop: Header=BB2_11 Depth=1
	s_andn2_b32 s19, s18, exec_lo
	s_and_b32 s20, s4, exec_lo
	s_or_b32 s19, s19, s20
; %bb.20:                               ;   in Loop: Header=BB2_11 Depth=1
	s_or_saveexec_b32 s20, s11
	v_mov_b32_e32 v54, 3
	s_xor_b32 exec_lo, exec_lo, s20
	s_cbranch_execz .LBB2_26
; %bb.21:                               ;   in Loop: Header=BB2_11 Depth=1
	v_cmp_ne_u32_e64 s11, 2, v3
	s_mov_b32 s21, s19
	s_and_saveexec_b32 s22, s11
	s_xor_b32 s11, exec_lo, s22
; %bb.22:                               ;   in Loop: Header=BB2_11 Depth=1
	s_andn2_b32 s21, s19, exec_lo
	s_and_b32 s22, s6, exec_lo
	s_or_b32 s21, s21, s22
; %bb.23:                               ;   in Loop: Header=BB2_11 Depth=1
	s_or_saveexec_b32 s11, s11
	v_mov_b32_e32 v54, 1
	s_xor_b32 exec_lo, exec_lo, s11
; %bb.24:                               ;   in Loop: Header=BB2_11 Depth=1
	v_mov_b32_e32 v54, 2
	s_andn2_b32 s21, s21, exec_lo
	s_and_b32 s22, s5, exec_lo
	s_or_b32 s21, s21, s22
; %bb.25:                               ;   in Loop: Header=BB2_11 Depth=1
	s_or_b32 exec_lo, exec_lo, s11
	s_andn2_b32 s11, s19, exec_lo
	s_and_b32 s19, s21, exec_lo
	s_or_b32 s19, s11, s19
.LBB2_26:                               ;   in Loop: Header=BB2_11 Depth=1
	s_or_b32 exec_lo, exec_lo, s20
	v_mov_b32_e32 v43, v2
	s_andn2_b32 s11, s18, exec_lo
	s_and_b32 s18, s19, exec_lo
	s_or_b32 s18, s11, s18
.LBB2_27:                               ;   in Loop: Header=BB2_11 Depth=1
	s_or_b32 exec_lo, exec_lo, s17
	s_mov_b32 s11, -1
	s_mov_b32 s19, -1
	s_and_saveexec_b32 s17, s18
	s_cbranch_execz .LBB2_10
; %bb.28:                               ;   in Loop: Header=BB2_11 Depth=1
	s_mov_b32 s18, 0
	s_mov_b32 s19, exec_lo
                                        ; implicit-def: $vgpr54
	v_cmpx_lt_i32_e32 3, v3
	s_xor_b32 s19, exec_lo, s19
	s_cbranch_execz .LBB2_34
; %bb.29:                               ;   in Loop: Header=BB2_11 Depth=1
	v_cmp_lt_i32_e64 s11, 4, v3
	s_and_saveexec_b32 s20, s11
	s_xor_b32 s11, exec_lo, s20
; %bb.30:                               ;   in Loop: Header=BB2_11 Depth=1
	s_and_b32 s18, s14, exec_lo
; %bb.31:                               ;   in Loop: Header=BB2_11 Depth=1
	s_or_saveexec_b32 s11, s11
	v_mov_b32_e32 v54, 5
	s_xor_b32 exec_lo, exec_lo, s11
; %bb.32:                               ;   in Loop: Header=BB2_11 Depth=1
	v_mov_b32_e32 v54, 4
	s_andn2_b32 s18, s18, exec_lo
	s_and_b32 s20, s7, exec_lo
	s_or_b32 s18, s18, s20
; %bb.33:                               ;   in Loop: Header=BB2_11 Depth=1
	s_or_b32 exec_lo, exec_lo, s11
	s_and_b32 s18, s18, exec_lo
.LBB2_34:                               ;   in Loop: Header=BB2_11 Depth=1
	s_andn2_saveexec_b32 s19, s19
	s_cbranch_execz .LBB2_44
; %bb.35:                               ;   in Loop: Header=BB2_11 Depth=1
	v_cmp_lt_i32_e64 s11, 2, v3
	s_mov_b32 s20, s18
	s_and_saveexec_b32 s21, s11
	s_xor_b32 s11, exec_lo, s21
; %bb.36:                               ;   in Loop: Header=BB2_11 Depth=1
	s_andn2_b32 s20, s18, exec_lo
	s_and_b32 s21, s8, exec_lo
	s_or_b32 s20, s20, s21
; %bb.37:                               ;   in Loop: Header=BB2_11 Depth=1
	s_or_saveexec_b32 s21, s11
	v_mov_b32_e32 v54, 3
	s_xor_b32 exec_lo, exec_lo, s21
	s_cbranch_execz .LBB2_43
; %bb.38:                               ;   in Loop: Header=BB2_11 Depth=1
	v_cmp_ne_u32_e64 s11, 2, v3
	s_mov_b32 s22, s20
	s_and_saveexec_b32 s23, s11
	s_xor_b32 s11, exec_lo, s23
; %bb.39:                               ;   in Loop: Header=BB2_11 Depth=1
	s_andn2_b32 s22, s20, exec_lo
	s_and_b32 s23, s10, exec_lo
	s_or_b32 s22, s22, s23
; %bb.40:                               ;   in Loop: Header=BB2_11 Depth=1
	s_or_saveexec_b32 s11, s11
	v_mov_b32_e32 v54, 1
	s_xor_b32 exec_lo, exec_lo, s11
; %bb.41:                               ;   in Loop: Header=BB2_11 Depth=1
	v_mov_b32_e32 v54, 2
	s_andn2_b32 s22, s22, exec_lo
	s_and_b32 s23, s9, exec_lo
	s_or_b32 s22, s22, s23
; %bb.42:                               ;   in Loop: Header=BB2_11 Depth=1
	s_or_b32 exec_lo, exec_lo, s11
	s_andn2_b32 s11, s20, exec_lo
	s_and_b32 s20, s22, exec_lo
	s_or_b32 s20, s11, s20
.LBB2_43:                               ;   in Loop: Header=BB2_11 Depth=1
	s_or_b32 exec_lo, exec_lo, s21
	s_andn2_b32 s11, s18, exec_lo
	s_and_b32 s18, s20, exec_lo
	s_or_b32 s18, s11, s18
.LBB2_44:                               ;   in Loop: Header=BB2_11 Depth=1
	s_or_b32 exec_lo, exec_lo, s19
	s_mov_b32 s11, -1
	s_mov_b32 s19, -1
	s_and_saveexec_b32 s20, s18
	s_cbranch_execz .LBB2_9
; %bb.45:                               ;   in Loop: Header=BB2_11 Depth=1
	v_cmp_gt_u32_e64 s11, 2, v3
	s_xor_b32 s19, exec_lo, -1
	s_orn2_b32 s11, s11, exec_lo
	s_branch .LBB2_9
.LBB2_46:
	s_or_b32 exec_lo, exec_lo, s12
	s_mov_b32 s48, s36
	s_and_saveexec_b32 s22, s4
	s_cbranch_execz .LBB2_48
.LBB2_47:
	s_getpc_b64 s[4:5]
	s_add_u32 s4, s4, .str.21@rel32@lo+4
	s_addc_u32 s5, s5, .str.21@rel32@hi+12
	s_getpc_b64 s[6:7]
	s_add_u32 s6, s6, .str.16@rel32@lo+4
	s_addc_u32 s7, s7, .str.16@rel32@hi+12
	s_getpc_b64 s[8:9]
	s_add_u32 s8, s8, __PRETTY_FUNCTION__._ZN3sop14minatoIsop5RecEjjiPNS_3SopEP7VecsMemIjLi8192EE@rel32@lo+4
	s_addc_u32 s9, s9, __PRETTY_FUNCTION__._ZN3sop14minatoIsop5RecEjjiPNS_3SopEP7VecsMemIjLi8192EE@rel32@hi+12
	v_mov_b32_e32 v52, v0
	v_mov_b32_e32 v0, s4
	;; [unrolled: 1-line block ×9, first 2 shown]
	s_getpc_b64 s[10:11]
	s_add_u32 s10, s10, __assert_fail@rel32@lo+4
	s_addc_u32 s11, s11, __assert_fail@rel32@hi+12
	s_mov_b64 s[8:9], s[34:35]
	s_swappc_b64 s[30:31], s[10:11]
	v_mov_b32_e32 v1, v64
	v_mov_b32_e32 v0, v52
	s_or_b32 s48, s36, exec_lo
	s_andn2_b32 s21, s21, exec_lo
.LBB2_48:
	s_or_b32 exec_lo, exec_lo, s22
	s_mov_b32 s4, 0
                                        ; implicit-def: $vgpr64
                                        ; implicit-def: $vgpr52
	s_and_saveexec_b32 s49, s21
	s_cbranch_execz .LBB2_265
; %bb.49:
	s_mov_b32 s4, exec_lo
                                        ; implicit-def: $vgpr3
                                        ; implicit-def: $vgpr2
	v_cmpx_lt_i32_e32 3, v54
	s_xor_b32 s4, exec_lo, s4
	s_cbranch_execz .LBB2_53
; %bb.50:
	v_mov_b32_e32 v2, 0xffff
	v_mov_b32_e32 v3, 0x10001
	s_mov_b32 s5, exec_lo
	v_cmpx_gt_i32_e32 5, v54
; %bb.51:
	v_mov_b32_e32 v2, 0xff00ff
	v_mov_b32_e32 v3, 0x101
; %bb.52:
	s_or_b32 exec_lo, exec_lo, s5
.LBB2_53:
	s_andn2_saveexec_b32 s4, s4
	s_cbranch_execz .LBB2_59
; %bb.54:
	s_mov_b32 s5, exec_lo
	v_cmpx_lt_i32_e32 2, v54
	s_xor_b32 s5, exec_lo, s5
	s_or_saveexec_b32 s5, s5
	v_mov_b32_e32 v2, 0xf0f0f0f
	v_mov_b32_e32 v3, 17
	s_xor_b32 exec_lo, exec_lo, s5
	s_cbranch_execz .LBB2_58
; %bb.55:
	s_mov_b32 s6, exec_lo
	v_cmpx_ne_u32_e32 2, v54
	s_xor_b32 s6, exec_lo, s6
	s_or_saveexec_b32 s6, s6
	v_mov_b32_e32 v2, 0x55555555
	v_mov_b32_e32 v3, 3
	s_xor_b32 exec_lo, exec_lo, s6
; %bb.56:
	v_mov_b32_e32 v2, 0x33333333
	v_mov_b32_e32 v3, 5
; %bb.57:
	s_or_b32 exec_lo, exec_lo, s6
.LBB2_58:
	s_or_b32 exec_lo, exec_lo, s5
.LBB2_59:
	s_or_b32 exec_lo, exec_lo, s4
	s_mov_b32 s4, exec_lo
                                        ; implicit-def: $vgpr57
	v_cmpx_lt_i32_e32 3, v54
	s_xor_b32 s4, exec_lo, s4
	s_cbranch_execz .LBB2_65
; %bb.60:
	s_mov_b32 s5, exec_lo
                                        ; implicit-def: $vgpr57
	v_cmpx_lt_i32_e32 4, v54
	s_xor_b32 s5, exec_lo, s5
; %bb.61:
	v_and_or_b32 v57, 0xffff0000, v0, v55
; %bb.62:
	s_andn2_saveexec_b32 s5, s5
; %bb.63:
	v_and_b32_e32 v4, 0xff00ff00, v0
	v_lshrrev_b32_e32 v5, 8, v4
	v_or_b32_e32 v57, v5, v4
; %bb.64:
	s_or_b32 exec_lo, exec_lo, s5
.LBB2_65:
	s_andn2_saveexec_b32 s4, s4
	s_cbranch_execz .LBB2_75
; %bb.66:
	s_mov_b32 s5, exec_lo
                                        ; implicit-def: $vgpr57
	v_cmpx_lt_i32_e32 2, v54
	s_xor_b32 s5, exec_lo, s5
; %bb.67:
	v_and_b32_e32 v4, 0xf0f0f0f0, v0
	v_lshrrev_b32_e32 v5, 4, v4
	v_or_b32_e32 v57, v5, v4
; %bb.68:
	s_andn2_saveexec_b32 s5, s5
	s_cbranch_execz .LBB2_74
; %bb.69:
	s_mov_b32 s6, exec_lo
                                        ; implicit-def: $vgpr57
	v_cmpx_ne_u32_e32 2, v54
	s_xor_b32 s6, exec_lo, s6
; %bb.70:
	v_and_b32_e32 v4, 0xaaaaaaaa, v0
	v_lshrrev_b32_e32 v5, 1, v4
	v_or_b32_e32 v57, v5, v4
; %bb.71:
	s_andn2_saveexec_b32 s6, s6
; %bb.72:
	v_and_b32_e32 v4, 0xcccccccc, v0
	v_lshrrev_b32_e32 v5, 2, v4
	v_or_b32_e32 v57, v5, v4
; %bb.73:
	s_or_b32 exec_lo, exec_lo, s6
.LBB2_74:
	s_or_b32 exec_lo, exec_lo, s5
.LBB2_75:
	s_or_b32 exec_lo, exec_lo, s4
	s_mov_b32 s4, exec_lo
                                        ; implicit-def: $vgpr5
                                        ; implicit-def: $vgpr4
	v_cmpx_lt_i32_e32 3, v54
	s_xor_b32 s4, exec_lo, s4
	s_cbranch_execz .LBB2_79
; %bb.76:
	v_mov_b32_e32 v4, 0xffff
	v_mov_b32_e32 v5, 0x10001
	s_mov_b32 s5, exec_lo
	v_cmpx_gt_i32_e32 5, v54
; %bb.77:
	v_mov_b32_e32 v4, 0xff00ff
	v_mov_b32_e32 v5, 0x101
; %bb.78:
	s_or_b32 exec_lo, exec_lo, s5
.LBB2_79:
	s_andn2_saveexec_b32 s4, s4
	s_cbranch_execz .LBB2_85
; %bb.80:
	s_mov_b32 s5, exec_lo
	v_cmpx_lt_i32_e32 2, v54
	s_xor_b32 s5, exec_lo, s5
	s_or_saveexec_b32 s5, s5
	v_mov_b32_e32 v4, 0xf0f0f0f
	v_mov_b32_e32 v5, 17
	s_xor_b32 exec_lo, exec_lo, s5
	s_cbranch_execz .LBB2_84
; %bb.81:
	s_mov_b32 s6, exec_lo
	v_cmpx_ne_u32_e32 2, v54
	s_xor_b32 s6, exec_lo, s6
	s_or_saveexec_b32 s6, s6
	v_mov_b32_e32 v4, 0x55555555
	v_mov_b32_e32 v5, 3
	s_xor_b32 exec_lo, exec_lo, s6
; %bb.82:
	v_mov_b32_e32 v4, 0x33333333
	v_mov_b32_e32 v5, 5
; %bb.83:
	s_or_b32 exec_lo, exec_lo, s6
.LBB2_84:
	s_or_b32 exec_lo, exec_lo, s5
.LBB2_85:
	s_or_b32 exec_lo, exec_lo, s4
	s_mov_b32 s4, exec_lo
                                        ; implicit-def: $vgpr40
	v_cmpx_lt_i32_e32 3, v54
	s_xor_b32 s4, exec_lo, s4
	s_cbranch_execz .LBB2_91
; %bb.86:
	s_mov_b32 s5, exec_lo
                                        ; implicit-def: $vgpr40
	v_cmpx_lt_i32_e32 4, v54
	s_xor_b32 s5, exec_lo, s5
; %bb.87:
	v_and_or_b32 v40, 0xffff0000, v1, v53
; %bb.88:
	s_andn2_saveexec_b32 s5, s5
; %bb.89:
	v_and_b32_e32 v6, 0xff00ff00, v1
	v_lshrrev_b32_e32 v7, 8, v6
	v_or_b32_e32 v40, v7, v6
; %bb.90:
	s_or_b32 exec_lo, exec_lo, s5
                                        ; implicit-def: $vgpr54
.LBB2_91:
	s_andn2_saveexec_b32 s4, s4
	s_cbranch_execz .LBB2_101
; %bb.92:
	s_mov_b32 s5, exec_lo
                                        ; implicit-def: $vgpr40
	v_cmpx_lt_i32_e32 2, v54
	s_xor_b32 s5, exec_lo, s5
; %bb.93:
	v_and_b32_e32 v6, 0xf0f0f0f0, v1
                                        ; implicit-def: $vgpr54
	v_lshrrev_b32_e32 v7, 4, v6
	v_or_b32_e32 v40, v7, v6
; %bb.94:
	s_andn2_saveexec_b32 s5, s5
	s_cbranch_execz .LBB2_100
; %bb.95:
	s_mov_b32 s6, exec_lo
                                        ; implicit-def: $vgpr40
	v_cmpx_ne_u32_e32 2, v54
	s_xor_b32 s6, exec_lo, s6
; %bb.96:
	v_and_b32_e32 v6, 0xaaaaaaaa, v1
	v_lshrrev_b32_e32 v7, 1, v6
	v_or_b32_e32 v40, v7, v6
; %bb.97:
	s_andn2_saveexec_b32 s6, s6
; %bb.98:
	v_and_b32_e32 v6, 0xcccccccc, v1
	v_lshrrev_b32_e32 v7, 2, v6
	v_or_b32_e32 v40, v7, v6
; %bb.99:
	s_or_b32 exec_lo, exec_lo, s6
.LBB2_100:
	s_or_b32 exec_lo, exec_lo, s5
.LBB2_101:
	s_or_b32 exec_lo, exec_lo, s4
	v_and_b32_e32 v0, v2, v0
	v_and_b32_e32 v1, v4, v1
	s_mov_b64 s[50:51], src_private_base
	v_mov_b32_e32 v2, v43
	v_mov_b32_e32 v4, s51
	v_mul_lo_u32 v58, v0, v3
	v_mul_lo_u32 v56, v1, v5
	v_lshrrev_b32_e64 v3, 5, s33
	v_mov_b32_e32 v5, v44
	v_mov_b32_e32 v6, v45
	s_getpc_b64 s[52:53]
	s_add_u32 s52, s52, _ZN3sop14minatoIsop5RecEjjiPNS_3SopEP7VecsMemIjLi8192EE@rel32@lo+4
	s_addc_u32 s53, s53, _ZN3sop14minatoIsop5RecEjjiPNS_3SopEP7VecsMemIjLi8192EE@rel32@hi+12
	s_mov_b64 s[8:9], s[34:35]
	v_add_nc_u32_e32 v3, 48, v3
	v_bfi_b32 v0, v40, 0, v58
	v_mov_b32_e32 v1, v56
	s_swappc_b64 s[30:31], s[52:53]
	v_lshrrev_b32_e64 v3, 5, s33
	v_mov_b32_e32 v46, v0
	v_bfi_b32 v0, v56, 0, v57
	v_mov_b32_e32 v1, v40
	v_mov_b32_e32 v2, v43
	v_add_nc_u32_e32 v3, 64, v3
	v_mov_b32_e32 v4, s51
	v_mov_b32_e32 v5, v44
	;; [unrolled: 1-line block ×3, first 2 shown]
	s_mov_b64 s[8:9], s[34:35]
	s_swappc_b64 s[30:31], s[52:53]
	v_mov_b32_e32 v47, v0
	v_bfi_b32 v0, v46, 0, v58
	v_lshrrev_b32_e64 v3, 5, s33
	v_and_b32_e32 v1, v56, v40
	v_mov_b32_e32 v4, s51
	v_not_b32_e32 v2, v47
	v_mov_b32_e32 v5, v44
	v_add_nc_u32_e32 v3, 0x50, v3
	v_mov_b32_e32 v6, v45
	s_mov_b64 s[8:9], s[34:35]
	v_and_or_b32 v0, v57, v2, v0
	v_mov_b32_e32 v2, v43
	s_swappc_b64 s[30:31], s[52:53]
	s_clause 0x5
	buffer_load_dword v66, off, s[0:3], s33 offset:52
	buffer_load_dword v65, off, s[0:3], s33 offset:68
	;; [unrolled: 1-line block ×6, first 2 shown]
	v_mov_b32_e32 v53, 0
	v_mov_b32_e32 v54, 0
	s_mov_b32 s21, 0
	s_mov_b32 s4, -1
	s_mov_b32 s24, s48
	s_mov_b32 s22, exec_lo
	s_waitcnt vmcnt(4)
	v_add_nc_u32_e32 v2, v65, v66
	s_waitcnt vmcnt(3)
	v_add_nc_u32_e32 v1, v2, v1
	;; [unrolled: 2-line block ×3, first 2 shown]
	s_waitcnt vmcnt(0)
	v_add3_u32 v1, v1, v3, v4
	flat_store_dwordx2 v[41:42], v[1:2]
	v_cmpx_lt_i32_e32 0, v2
	s_cbranch_execz .LBB2_242
; %bb.102:
	flat_load_dword v1, v[44:45]
	v_mov_b32_e32 v53, 0
	v_mov_b32_e32 v54, 0
	s_mov_b32 s23, 0
	s_mov_b32 s4, exec_lo
	s_waitcnt vmcnt(0) lgkmcnt(0)
	v_add_nc_u32_e32 v3, v1, v2
	v_cmpx_gt_i32_e32 0x2001, v3
	s_xor_b32 s4, exec_lo, s4
	s_cbranch_execz .LBB2_104
; %bb.103:
	v_ashrrev_i32_e32 v4, 31, v3
	v_mov_b32_e32 v6, 0
	v_mov_b32_e32 v5, v2
	s_mov_b32 s23, exec_lo
	flat_store_dword v[44:45], v3
	v_lshlrev_b64 v[1:2], 2, v[3:4]
	v_lshlrev_b64 v[4:5], 2, v[5:6]
	v_add_co_u32 v1, vcc_lo, v44, v1
	v_add_co_ci_u32_e64 v2, null, v45, v2, vcc_lo
	v_sub_co_u32 v1, vcc_lo, v1, v4
	v_sub_co_ci_u32_e64 v2, null, v2, v5, vcc_lo
	v_add_co_u32 v53, vcc_lo, v1, 4
	v_add_co_ci_u32_e64 v54, null, 0, v2, vcc_lo
.LBB2_104:
	s_or_saveexec_b32 s24, s4
	s_mov_b32 s4, s48
	s_xor_b32 exec_lo, exec_lo, s24
	s_cbranch_execz .LBB2_241
; %bb.105:
	s_load_dwordx2 s[6:7], s[34:35], 0x50
	v_mbcnt_lo_u32_b32 v30, -1, 0
	v_mov_b32_e32 v7, 0
	v_mov_b32_e32 v8, 0
	v_readfirstlane_b32 s4, v30
	v_cmp_eq_u32_e64 s4, s4, v30
	s_and_saveexec_b32 s5, s4
	s_cbranch_execz .LBB2_111
; %bb.106:
	v_mov_b32_e32 v1, 0
	s_mov_b32 s8, exec_lo
	s_waitcnt lgkmcnt(0)
	global_load_dwordx2 v[4:5], v1, s[6:7] offset:24 glc dlc
	s_waitcnt vmcnt(0)
	buffer_gl1_inv
	buffer_gl0_inv
	s_clause 0x1
	global_load_dwordx2 v[2:3], v1, s[6:7] offset:40
	global_load_dwordx2 v[6:7], v1, s[6:7]
	s_waitcnt vmcnt(1)
	v_and_b32_e32 v3, v3, v5
	v_and_b32_e32 v2, v2, v4
	v_mul_lo_u32 v3, v3, 24
	v_mul_hi_u32 v8, v2, 24
	v_mul_lo_u32 v2, v2, 24
	v_add_nc_u32_e32 v3, v8, v3
	s_waitcnt vmcnt(0)
	v_add_co_u32 v2, vcc_lo, v6, v2
	v_add_co_ci_u32_e64 v3, null, v7, v3, vcc_lo
	global_load_dwordx2 v[2:3], v[2:3], off glc dlc
	s_waitcnt vmcnt(0)
	global_atomic_cmpswap_x2 v[7:8], v1, v[2:5], s[6:7] offset:24 glc
	s_waitcnt vmcnt(0)
	buffer_gl1_inv
	buffer_gl0_inv
	v_cmpx_ne_u64_e64 v[7:8], v[4:5]
	s_cbranch_execz .LBB2_110
; %bb.107:
	s_mov_b32 s9, 0
.LBB2_108:                              ; =>This Inner Loop Header: Depth=1
	s_sleep 1
	s_clause 0x1
	global_load_dwordx2 v[2:3], v1, s[6:7] offset:40
	global_load_dwordx2 v[9:10], v1, s[6:7]
	v_mov_b32_e32 v4, v7
	v_mov_b32_e32 v5, v8
	s_waitcnt vmcnt(1)
	v_and_b32_e32 v2, v2, v4
	v_and_b32_e32 v3, v3, v5
	s_waitcnt vmcnt(0)
	v_mad_u64_u32 v[6:7], null, v2, 24, v[9:10]
	v_mov_b32_e32 v2, v7
	v_mad_u64_u32 v[2:3], null, v3, 24, v[2:3]
	v_mov_b32_e32 v7, v2
	global_load_dwordx2 v[2:3], v[6:7], off glc dlc
	s_waitcnt vmcnt(0)
	global_atomic_cmpswap_x2 v[7:8], v1, v[2:5], s[6:7] offset:24 glc
	s_waitcnt vmcnt(0)
	buffer_gl1_inv
	buffer_gl0_inv
	v_cmp_eq_u64_e32 vcc_lo, v[7:8], v[4:5]
	s_or_b32 s9, vcc_lo, s9
	s_andn2_b32 exec_lo, exec_lo, s9
	s_cbranch_execnz .LBB2_108
; %bb.109:
	s_or_b32 exec_lo, exec_lo, s9
.LBB2_110:
	s_or_b32 exec_lo, exec_lo, s8
.LBB2_111:
	s_or_b32 exec_lo, exec_lo, s5
	v_mov_b32_e32 v6, 0
	v_readfirstlane_b32 s9, v8
	v_readfirstlane_b32 s8, v7
	s_mov_b32 s5, exec_lo
	s_waitcnt lgkmcnt(0)
	s_clause 0x1
	global_load_dwordx2 v[9:10], v6, s[6:7] offset:40
	global_load_dwordx4 v[1:4], v6, s[6:7]
	s_waitcnt vmcnt(1)
	v_readfirstlane_b32 s10, v9
	v_readfirstlane_b32 s11, v10
	s_and_b64 s[10:11], s[10:11], s[8:9]
	s_mul_i32 s12, s11, 24
	s_mul_hi_u32 s13, s10, 24
	s_mul_i32 s14, s10, 24
	s_add_i32 s13, s13, s12
	s_waitcnt vmcnt(0)
	v_add_co_u32 v9, vcc_lo, v1, s14
	v_add_co_ci_u32_e64 v10, null, s13, v2, vcc_lo
	s_and_saveexec_b32 s12, s4
	s_cbranch_execz .LBB2_113
; %bb.112:
	v_mov_b32_e32 v5, s5
	v_mov_b32_e32 v7, 2
	;; [unrolled: 1-line block ×3, first 2 shown]
	global_store_dwordx4 v[9:10], v[5:8], off offset:8
.LBB2_113:
	s_or_b32 exec_lo, exec_lo, s12
	s_lshl_b64 s[10:11], s[10:11], 12
	v_lshlrev_b32_e32 v29, 6, v30
	v_add_co_u32 v3, vcc_lo, v3, s10
	v_add_co_ci_u32_e64 v4, null, s11, v4, vcc_lo
	s_mov_b32 s12, 0
	v_add_co_u32 v11, vcc_lo, v3, v29
	s_mov_b32 s15, s12
	s_mov_b32 s13, s12
	;; [unrolled: 1-line block ×3, first 2 shown]
	v_mov_b32_e32 v5, 33
	v_mov_b32_e32 v7, v6
	;; [unrolled: 1-line block ×3, first 2 shown]
	v_readfirstlane_b32 s10, v3
	v_readfirstlane_b32 s11, v4
	v_mov_b32_e32 v16, s15
	v_add_co_ci_u32_e64 v12, null, 0, v4, vcc_lo
	v_mov_b32_e32 v15, s14
	v_mov_b32_e32 v14, s13
	v_mov_b32_e32 v13, s12
	global_store_dwordx4 v29, v[5:8], s[10:11]
	global_store_dwordx4 v29, v[13:16], s[10:11] offset:16
	global_store_dwordx4 v29, v[13:16], s[10:11] offset:32
	;; [unrolled: 1-line block ×3, first 2 shown]
	s_and_saveexec_b32 s5, s4
	s_cbranch_execz .LBB2_121
; %bb.114:
	v_mov_b32_e32 v7, 0
	v_mov_b32_e32 v13, s8
	;; [unrolled: 1-line block ×3, first 2 shown]
	s_mov_b32 s10, exec_lo
	s_clause 0x1
	global_load_dwordx2 v[15:16], v7, s[6:7] offset:32 glc dlc
	global_load_dwordx2 v[3:4], v7, s[6:7] offset:40
	s_waitcnt vmcnt(0)
	v_and_b32_e32 v4, s9, v4
	v_and_b32_e32 v3, s8, v3
	v_mul_lo_u32 v4, v4, 24
	v_mul_hi_u32 v5, v3, 24
	v_mul_lo_u32 v3, v3, 24
	v_add_nc_u32_e32 v4, v5, v4
	v_add_co_u32 v5, vcc_lo, v1, v3
	v_add_co_ci_u32_e64 v6, null, v2, v4, vcc_lo
	global_store_dwordx2 v[5:6], v[15:16], off
	s_waitcnt_vscnt null, 0x0
	global_atomic_cmpswap_x2 v[3:4], v7, v[13:16], s[6:7] offset:32 glc
	s_waitcnt vmcnt(0)
	v_cmpx_ne_u64_e64 v[3:4], v[15:16]
	s_cbranch_execz .LBB2_117
; %bb.115:
	s_mov_b32 s11, 0
.LBB2_116:                              ; =>This Inner Loop Header: Depth=1
	v_mov_b32_e32 v1, s8
	v_mov_b32_e32 v2, s9
	s_sleep 1
	global_store_dwordx2 v[5:6], v[3:4], off
	s_waitcnt_vscnt null, 0x0
	global_atomic_cmpswap_x2 v[1:2], v7, v[1:4], s[6:7] offset:32 glc
	s_waitcnt vmcnt(0)
	v_cmp_eq_u64_e32 vcc_lo, v[1:2], v[3:4]
	v_mov_b32_e32 v4, v2
	v_mov_b32_e32 v3, v1
	s_or_b32 s11, vcc_lo, s11
	s_andn2_b32 exec_lo, exec_lo, s11
	s_cbranch_execnz .LBB2_116
.LBB2_117:
	s_or_b32 exec_lo, exec_lo, s10
	v_mov_b32_e32 v4, 0
	s_mov_b32 s11, exec_lo
	s_mov_b32 s10, exec_lo
	v_mbcnt_lo_u32_b32 v3, s11, 0
	global_load_dwordx2 v[1:2], v4, s[6:7] offset:16
	v_cmpx_eq_u32_e32 0, v3
	s_cbranch_execz .LBB2_119
; %bb.118:
	s_bcnt1_i32_b32 s11, s11
	v_mov_b32_e32 v3, s11
	s_waitcnt vmcnt(0)
	global_atomic_add_x2 v[1:2], v[3:4], off offset:8
.LBB2_119:
	s_or_b32 exec_lo, exec_lo, s10
	s_waitcnt vmcnt(0)
	global_load_dwordx2 v[3:4], v[1:2], off offset:16
	s_waitcnt vmcnt(0)
	v_cmp_eq_u64_e32 vcc_lo, 0, v[3:4]
	s_cbranch_vccnz .LBB2_121
; %bb.120:
	global_load_dword v1, v[1:2], off offset:24
	v_mov_b32_e32 v2, 0
	s_waitcnt vmcnt(0)
	v_readfirstlane_b32 s10, v1
	s_waitcnt_vscnt null, 0x0
	global_store_dwordx2 v[3:4], v[1:2], off
	s_and_b32 m0, s10, 0x7fffff
	s_sendmsg sendmsg(MSG_INTERRUPT)
.LBB2_121:
	s_or_b32 exec_lo, exec_lo, s5
	s_branch .LBB2_123
.LBB2_122:
	s_branch .LBB2_127
.LBB2_123:                              ; =>This Inner Loop Header: Depth=1
	v_mov_b32_e32 v1, 1
	s_and_saveexec_b32 s5, s4
	s_cbranch_execz .LBB2_125
; %bb.124:                              ;   in Loop: Header=BB2_123 Depth=1
	global_load_dword v1, v[9:10], off offset:20 glc dlc
	s_waitcnt vmcnt(0)
	buffer_gl1_inv
	buffer_gl0_inv
	v_and_b32_e32 v1, 1, v1
.LBB2_125:                              ;   in Loop: Header=BB2_123 Depth=1
	s_or_b32 exec_lo, exec_lo, s5
	v_readfirstlane_b32 s5, v1
	s_cmp_eq_u32 s5, 0
	s_cbranch_scc1 .LBB2_122
; %bb.126:                              ;   in Loop: Header=BB2_123 Depth=1
	s_sleep 1
	s_cbranch_execnz .LBB2_123
.LBB2_127:
	global_load_dwordx2 v[1:2], v[11:12], off
	s_and_saveexec_b32 s10, s4
	s_cbranch_execz .LBB2_131
; %bb.128:
	v_mov_b32_e32 v9, 0
	s_clause 0x2
	global_load_dwordx2 v[3:4], v9, s[6:7] offset:40
	global_load_dwordx2 v[12:13], v9, s[6:7] offset:24 glc dlc
	global_load_dwordx2 v[5:6], v9, s[6:7]
	s_waitcnt vmcnt(2)
	v_readfirstlane_b32 s12, v3
	v_readfirstlane_b32 s13, v4
	s_add_u32 s11, s12, 1
	s_addc_u32 s14, s13, 0
	s_add_u32 s4, s11, s8
	s_addc_u32 s5, s14, s9
	s_cmp_eq_u64 s[4:5], 0
	s_cselect_b32 s5, s14, s5
	s_cselect_b32 s4, s11, s4
	v_mov_b32_e32 v11, s5
	s_and_b64 s[8:9], s[4:5], s[12:13]
	v_mov_b32_e32 v10, s4
	s_mul_i32 s9, s9, 24
	s_mul_hi_u32 s11, s8, 24
	s_mul_i32 s8, s8, 24
	s_add_i32 s11, s11, s9
	s_waitcnt vmcnt(0)
	v_add_co_u32 v7, vcc_lo, v5, s8
	v_add_co_ci_u32_e64 v8, null, s11, v6, vcc_lo
	global_store_dwordx2 v[7:8], v[12:13], off
	s_waitcnt_vscnt null, 0x0
	global_atomic_cmpswap_x2 v[5:6], v9, v[10:13], s[6:7] offset:24 glc
	s_waitcnt vmcnt(0)
	v_cmp_ne_u64_e32 vcc_lo, v[5:6], v[12:13]
	s_and_b32 exec_lo, exec_lo, vcc_lo
	s_cbranch_execz .LBB2_131
; %bb.129:
	s_mov_b32 s8, 0
.LBB2_130:                              ; =>This Inner Loop Header: Depth=1
	v_mov_b32_e32 v3, s4
	v_mov_b32_e32 v4, s5
	s_sleep 1
	global_store_dwordx2 v[7:8], v[5:6], off
	s_waitcnt_vscnt null, 0x0
	global_atomic_cmpswap_x2 v[3:4], v9, v[3:6], s[6:7] offset:24 glc
	s_waitcnt vmcnt(0)
	v_cmp_eq_u64_e32 vcc_lo, v[3:4], v[5:6]
	v_mov_b32_e32 v6, v4
	v_mov_b32_e32 v5, v3
	s_or_b32 s8, vcc_lo, s8
	s_andn2_b32 exec_lo, exec_lo, s8
	s_cbranch_execnz .LBB2_130
.LBB2_131:
	s_or_b32 exec_lo, exec_lo, s10
	s_getpc_b64 s[8:9]
	s_add_u32 s8, s8, .str.28@rel32@lo+4
	s_addc_u32 s9, s9, .str.28@rel32@hi+12
	s_cmp_lg_u64 s[8:9], 0
	s_cbranch_scc0 .LBB2_211
; %bb.132:
	s_waitcnt vmcnt(0)
	v_and_b32_e32 v7, -3, v1
	v_mov_b32_e32 v8, v2
	v_mov_b32_e32 v4, 0
	;; [unrolled: 1-line block ×4, first 2 shown]
	s_mov_b64 s[10:11], 35
	s_branch .LBB2_134
.LBB2_133:                              ;   in Loop: Header=BB2_134 Depth=1
	s_or_b32 exec_lo, exec_lo, s16
	s_sub_u32 s10, s10, s12
	s_subb_u32 s11, s11, s13
	s_add_u32 s8, s8, s12
	s_addc_u32 s9, s9, s13
	s_cmp_lg_u64 s[10:11], 0
	s_cbranch_scc0 .LBB2_210
.LBB2_134:                              ; =>This Loop Header: Depth=1
                                        ;     Child Loop BB2_137 Depth 2
                                        ;     Child Loop BB2_144 Depth 2
	;; [unrolled: 1-line block ×11, first 2 shown]
	v_cmp_lt_u64_e64 s4, s[10:11], 56
	v_cmp_gt_u64_e64 s14, s[10:11], 7
	s_and_b32 s4, s4, exec_lo
	s_cselect_b32 s13, s11, 0
	s_cselect_b32 s12, s10, 56
	s_add_u32 s4, s8, 8
	s_addc_u32 s5, s9, 0
	s_and_b32 vcc_lo, exec_lo, s14
	s_cbranch_vccnz .LBB2_139
; %bb.135:                              ;   in Loop: Header=BB2_134 Depth=1
	s_waitcnt vmcnt(0)
	v_mov_b32_e32 v9, 0
	v_mov_b32_e32 v10, 0
	s_cmp_eq_u64 s[10:11], 0
	s_cbranch_scc1 .LBB2_138
; %bb.136:                              ;   in Loop: Header=BB2_134 Depth=1
	s_lshl_b64 s[4:5], s[12:13], 3
	s_mov_b64 s[14:15], 0
	s_mov_b64 s[16:17], s[8:9]
.LBB2_137:                              ;   Parent Loop BB2_134 Depth=1
                                        ; =>  This Inner Loop Header: Depth=2
	global_load_ubyte v3, v4, s[16:17]
	s_waitcnt vmcnt(0)
	v_and_b32_e32 v3, 0xffff, v3
	v_lshlrev_b64 v[11:12], s14, v[3:4]
	s_add_u32 s14, s14, 8
	s_addc_u32 s15, s15, 0
	s_add_u32 s16, s16, 1
	s_addc_u32 s17, s17, 0
	s_cmp_lg_u32 s4, s14
	v_or_b32_e32 v9, v11, v9
	v_or_b32_e32 v10, v12, v10
	s_cbranch_scc1 .LBB2_137
.LBB2_138:                              ;   in Loop: Header=BB2_134 Depth=1
	s_mov_b64 s[4:5], s[8:9]
	s_mov_b32 s18, 0
	s_cbranch_execz .LBB2_140
	s_branch .LBB2_141
.LBB2_139:                              ;   in Loop: Header=BB2_134 Depth=1
	s_mov_b32 s18, 0
.LBB2_140:                              ;   in Loop: Header=BB2_134 Depth=1
	global_load_dwordx2 v[9:10], v4, s[8:9]
	s_add_i32 s18, s12, -8
.LBB2_141:                              ;   in Loop: Header=BB2_134 Depth=1
	s_add_u32 s14, s4, 8
	s_addc_u32 s15, s5, 0
	s_cmp_gt_u32 s18, 7
	s_cbranch_scc1 .LBB2_146
; %bb.142:                              ;   in Loop: Header=BB2_134 Depth=1
	v_mov_b32_e32 v11, 0
	v_mov_b32_e32 v12, 0
	s_cmp_eq_u32 s18, 0
	s_cbranch_scc1 .LBB2_145
; %bb.143:                              ;   in Loop: Header=BB2_134 Depth=1
	s_mov_b64 s[14:15], 0
	s_mov_b64 s[16:17], 0
.LBB2_144:                              ;   Parent Loop BB2_134 Depth=1
                                        ; =>  This Inner Loop Header: Depth=2
	s_add_u32 s26, s4, s16
	s_addc_u32 s27, s5, s17
	s_add_u32 s16, s16, 1
	global_load_ubyte v3, v4, s[26:27]
	s_addc_u32 s17, s17, 0
	s_waitcnt vmcnt(0)
	v_and_b32_e32 v3, 0xffff, v3
	v_lshlrev_b64 v[13:14], s14, v[3:4]
	s_add_u32 s14, s14, 8
	s_addc_u32 s15, s15, 0
	s_cmp_lg_u32 s18, s16
	v_or_b32_e32 v11, v13, v11
	v_or_b32_e32 v12, v14, v12
	s_cbranch_scc1 .LBB2_144
.LBB2_145:                              ;   in Loop: Header=BB2_134 Depth=1
	s_mov_b64 s[14:15], s[4:5]
	s_mov_b32 s19, 0
	s_cbranch_execz .LBB2_147
	s_branch .LBB2_148
.LBB2_146:                              ;   in Loop: Header=BB2_134 Depth=1
                                        ; implicit-def: $vgpr11_vgpr12
	s_mov_b32 s19, 0
.LBB2_147:                              ;   in Loop: Header=BB2_134 Depth=1
	global_load_dwordx2 v[11:12], v4, s[4:5]
	s_add_i32 s19, s18, -8
.LBB2_148:                              ;   in Loop: Header=BB2_134 Depth=1
	s_add_u32 s4, s14, 8
	s_addc_u32 s5, s15, 0
	s_cmp_gt_u32 s19, 7
	s_cbranch_scc1 .LBB2_153
; %bb.149:                              ;   in Loop: Header=BB2_134 Depth=1
	v_mov_b32_e32 v13, 0
	v_mov_b32_e32 v14, 0
	s_cmp_eq_u32 s19, 0
	s_cbranch_scc1 .LBB2_152
; %bb.150:                              ;   in Loop: Header=BB2_134 Depth=1
	s_mov_b64 s[4:5], 0
	s_mov_b64 s[16:17], 0
.LBB2_151:                              ;   Parent Loop BB2_134 Depth=1
                                        ; =>  This Inner Loop Header: Depth=2
	s_add_u32 s26, s14, s16
	s_addc_u32 s27, s15, s17
	s_add_u32 s16, s16, 1
	global_load_ubyte v3, v4, s[26:27]
	s_addc_u32 s17, s17, 0
	s_waitcnt vmcnt(0)
	v_and_b32_e32 v3, 0xffff, v3
	v_lshlrev_b64 v[15:16], s4, v[3:4]
	s_add_u32 s4, s4, 8
	s_addc_u32 s5, s5, 0
	s_cmp_lg_u32 s19, s16
	v_or_b32_e32 v13, v15, v13
	v_or_b32_e32 v14, v16, v14
	s_cbranch_scc1 .LBB2_151
.LBB2_152:                              ;   in Loop: Header=BB2_134 Depth=1
	s_mov_b64 s[4:5], s[14:15]
	s_mov_b32 s18, 0
	s_cbranch_execz .LBB2_154
	s_branch .LBB2_155
.LBB2_153:                              ;   in Loop: Header=BB2_134 Depth=1
	s_mov_b32 s18, 0
.LBB2_154:                              ;   in Loop: Header=BB2_134 Depth=1
	global_load_dwordx2 v[13:14], v4, s[14:15]
	s_add_i32 s18, s19, -8
.LBB2_155:                              ;   in Loop: Header=BB2_134 Depth=1
	s_add_u32 s14, s4, 8
	s_addc_u32 s15, s5, 0
	s_cmp_gt_u32 s18, 7
	s_cbranch_scc1 .LBB2_160
; %bb.156:                              ;   in Loop: Header=BB2_134 Depth=1
	v_mov_b32_e32 v15, 0
	v_mov_b32_e32 v16, 0
	s_cmp_eq_u32 s18, 0
	s_cbranch_scc1 .LBB2_159
; %bb.157:                              ;   in Loop: Header=BB2_134 Depth=1
	s_mov_b64 s[14:15], 0
	s_mov_b64 s[16:17], 0
.LBB2_158:                              ;   Parent Loop BB2_134 Depth=1
                                        ; =>  This Inner Loop Header: Depth=2
	s_add_u32 s26, s4, s16
	s_addc_u32 s27, s5, s17
	s_add_u32 s16, s16, 1
	global_load_ubyte v3, v4, s[26:27]
	s_addc_u32 s17, s17, 0
	s_waitcnt vmcnt(0)
	v_and_b32_e32 v3, 0xffff, v3
	v_lshlrev_b64 v[17:18], s14, v[3:4]
	s_add_u32 s14, s14, 8
	s_addc_u32 s15, s15, 0
	s_cmp_lg_u32 s18, s16
	v_or_b32_e32 v15, v17, v15
	v_or_b32_e32 v16, v18, v16
	s_cbranch_scc1 .LBB2_158
.LBB2_159:                              ;   in Loop: Header=BB2_134 Depth=1
	s_mov_b64 s[14:15], s[4:5]
	s_mov_b32 s19, 0
	s_cbranch_execz .LBB2_161
	s_branch .LBB2_162
.LBB2_160:                              ;   in Loop: Header=BB2_134 Depth=1
                                        ; implicit-def: $vgpr15_vgpr16
	s_mov_b32 s19, 0
.LBB2_161:                              ;   in Loop: Header=BB2_134 Depth=1
	global_load_dwordx2 v[15:16], v4, s[4:5]
	s_add_i32 s19, s18, -8
.LBB2_162:                              ;   in Loop: Header=BB2_134 Depth=1
	s_add_u32 s4, s14, 8
	s_addc_u32 s5, s15, 0
	s_cmp_gt_u32 s19, 7
	s_cbranch_scc1 .LBB2_167
; %bb.163:                              ;   in Loop: Header=BB2_134 Depth=1
	v_mov_b32_e32 v17, 0
	v_mov_b32_e32 v18, 0
	s_cmp_eq_u32 s19, 0
	s_cbranch_scc1 .LBB2_166
; %bb.164:                              ;   in Loop: Header=BB2_134 Depth=1
	s_mov_b64 s[4:5], 0
	s_mov_b64 s[16:17], 0
.LBB2_165:                              ;   Parent Loop BB2_134 Depth=1
                                        ; =>  This Inner Loop Header: Depth=2
	s_add_u32 s26, s14, s16
	s_addc_u32 s27, s15, s17
	s_add_u32 s16, s16, 1
	global_load_ubyte v3, v4, s[26:27]
	s_addc_u32 s17, s17, 0
	s_waitcnt vmcnt(0)
	v_and_b32_e32 v3, 0xffff, v3
	v_lshlrev_b64 v[19:20], s4, v[3:4]
	s_add_u32 s4, s4, 8
	s_addc_u32 s5, s5, 0
	s_cmp_lg_u32 s19, s16
	v_or_b32_e32 v17, v19, v17
	v_or_b32_e32 v18, v20, v18
	s_cbranch_scc1 .LBB2_165
.LBB2_166:                              ;   in Loop: Header=BB2_134 Depth=1
	s_mov_b64 s[4:5], s[14:15]
	s_mov_b32 s18, 0
	s_cbranch_execz .LBB2_168
	s_branch .LBB2_169
.LBB2_167:                              ;   in Loop: Header=BB2_134 Depth=1
	s_mov_b32 s18, 0
.LBB2_168:                              ;   in Loop: Header=BB2_134 Depth=1
	global_load_dwordx2 v[17:18], v4, s[14:15]
	s_add_i32 s18, s19, -8
.LBB2_169:                              ;   in Loop: Header=BB2_134 Depth=1
	s_add_u32 s14, s4, 8
	s_addc_u32 s15, s5, 0
	s_cmp_gt_u32 s18, 7
	s_cbranch_scc1 .LBB2_174
; %bb.170:                              ;   in Loop: Header=BB2_134 Depth=1
	v_mov_b32_e32 v19, 0
	v_mov_b32_e32 v20, 0
	s_cmp_eq_u32 s18, 0
	s_cbranch_scc1 .LBB2_173
; %bb.171:                              ;   in Loop: Header=BB2_134 Depth=1
	s_mov_b64 s[14:15], 0
	s_mov_b64 s[16:17], 0
.LBB2_172:                              ;   Parent Loop BB2_134 Depth=1
                                        ; =>  This Inner Loop Header: Depth=2
	s_add_u32 s26, s4, s16
	s_addc_u32 s27, s5, s17
	s_add_u32 s16, s16, 1
	global_load_ubyte v3, v4, s[26:27]
	s_addc_u32 s17, s17, 0
	s_waitcnt vmcnt(0)
	v_and_b32_e32 v3, 0xffff, v3
	v_lshlrev_b64 v[21:22], s14, v[3:4]
	s_add_u32 s14, s14, 8
	s_addc_u32 s15, s15, 0
	s_cmp_lg_u32 s18, s16
	v_or_b32_e32 v19, v21, v19
	v_or_b32_e32 v20, v22, v20
	s_cbranch_scc1 .LBB2_172
.LBB2_173:                              ;   in Loop: Header=BB2_134 Depth=1
	s_mov_b64 s[14:15], s[4:5]
	s_mov_b32 s19, 0
	s_cbranch_execz .LBB2_175
	s_branch .LBB2_176
.LBB2_174:                              ;   in Loop: Header=BB2_134 Depth=1
                                        ; implicit-def: $vgpr19_vgpr20
	s_mov_b32 s19, 0
.LBB2_175:                              ;   in Loop: Header=BB2_134 Depth=1
	global_load_dwordx2 v[19:20], v4, s[4:5]
	s_add_i32 s19, s18, -8
.LBB2_176:                              ;   in Loop: Header=BB2_134 Depth=1
	s_cmp_gt_u32 s19, 7
	s_cbranch_scc1 .LBB2_181
; %bb.177:                              ;   in Loop: Header=BB2_134 Depth=1
	v_mov_b32_e32 v21, 0
	v_mov_b32_e32 v22, 0
	s_cmp_eq_u32 s19, 0
	s_cbranch_scc1 .LBB2_180
; %bb.178:                              ;   in Loop: Header=BB2_134 Depth=1
	s_mov_b64 s[4:5], 0
	s_mov_b64 s[16:17], s[14:15]
.LBB2_179:                              ;   Parent Loop BB2_134 Depth=1
                                        ; =>  This Inner Loop Header: Depth=2
	global_load_ubyte v3, v4, s[16:17]
	s_add_i32 s19, s19, -1
	s_waitcnt vmcnt(0)
	v_and_b32_e32 v3, 0xffff, v3
	v_lshlrev_b64 v[23:24], s4, v[3:4]
	s_add_u32 s4, s4, 8
	s_addc_u32 s5, s5, 0
	s_add_u32 s16, s16, 1
	s_addc_u32 s17, s17, 0
	s_cmp_lg_u32 s19, 0
	v_or_b32_e32 v21, v23, v21
	v_or_b32_e32 v22, v24, v22
	s_cbranch_scc1 .LBB2_179
.LBB2_180:                              ;   in Loop: Header=BB2_134 Depth=1
	s_cbranch_execz .LBB2_182
	s_branch .LBB2_183
.LBB2_181:                              ;   in Loop: Header=BB2_134 Depth=1
.LBB2_182:                              ;   in Loop: Header=BB2_134 Depth=1
	global_load_dwordx2 v[21:22], v4, s[14:15]
.LBB2_183:                              ;   in Loop: Header=BB2_134 Depth=1
	v_readfirstlane_b32 s4, v30
	v_mov_b32_e32 v27, 0
	v_mov_b32_e32 v28, 0
	v_cmp_eq_u32_e64 s4, s4, v30
	s_and_saveexec_b32 s5, s4
	s_cbranch_execz .LBB2_189
; %bb.184:                              ;   in Loop: Header=BB2_134 Depth=1
	global_load_dwordx2 v[25:26], v4, s[6:7] offset:24 glc dlc
	s_waitcnt vmcnt(0)
	buffer_gl1_inv
	buffer_gl0_inv
	s_clause 0x1
	global_load_dwordx2 v[23:24], v4, s[6:7] offset:40
	global_load_dwordx2 v[27:28], v4, s[6:7]
	s_mov_b32 s14, exec_lo
	s_waitcnt vmcnt(1)
	v_and_b32_e32 v3, v24, v26
	v_and_b32_e32 v23, v23, v25
	v_mul_lo_u32 v3, v3, 24
	v_mul_hi_u32 v24, v23, 24
	v_mul_lo_u32 v23, v23, 24
	v_add_nc_u32_e32 v3, v24, v3
	s_waitcnt vmcnt(0)
	v_add_co_u32 v23, vcc_lo, v27, v23
	v_add_co_ci_u32_e64 v24, null, v28, v3, vcc_lo
	global_load_dwordx2 v[23:24], v[23:24], off glc dlc
	s_waitcnt vmcnt(0)
	global_atomic_cmpswap_x2 v[27:28], v4, v[23:26], s[6:7] offset:24 glc
	s_waitcnt vmcnt(0)
	buffer_gl1_inv
	buffer_gl0_inv
	v_cmpx_ne_u64_e64 v[27:28], v[25:26]
	s_cbranch_execz .LBB2_188
; %bb.185:                              ;   in Loop: Header=BB2_134 Depth=1
	s_mov_b32 s15, 0
	.p2align	6
.LBB2_186:                              ;   Parent Loop BB2_134 Depth=1
                                        ; =>  This Inner Loop Header: Depth=2
	s_sleep 1
	s_clause 0x1
	global_load_dwordx2 v[23:24], v4, s[6:7] offset:40
	global_load_dwordx2 v[31:32], v4, s[6:7]
	v_mov_b32_e32 v25, v27
	v_mov_b32_e32 v26, v28
	s_waitcnt vmcnt(1)
	v_and_b32_e32 v3, v23, v25
	v_and_b32_e32 v23, v24, v26
	s_waitcnt vmcnt(0)
	v_mad_u64_u32 v[27:28], null, v3, 24, v[31:32]
	v_mov_b32_e32 v3, v28
	v_mad_u64_u32 v[23:24], null, v23, 24, v[3:4]
	v_mov_b32_e32 v28, v23
	global_load_dwordx2 v[23:24], v[27:28], off glc dlc
	s_waitcnt vmcnt(0)
	global_atomic_cmpswap_x2 v[27:28], v4, v[23:26], s[6:7] offset:24 glc
	s_waitcnt vmcnt(0)
	buffer_gl1_inv
	buffer_gl0_inv
	v_cmp_eq_u64_e32 vcc_lo, v[27:28], v[25:26]
	s_or_b32 s15, vcc_lo, s15
	s_andn2_b32 exec_lo, exec_lo, s15
	s_cbranch_execnz .LBB2_186
; %bb.187:                              ;   in Loop: Header=BB2_134 Depth=1
	s_or_b32 exec_lo, exec_lo, s15
.LBB2_188:                              ;   in Loop: Header=BB2_134 Depth=1
	s_or_b32 exec_lo, exec_lo, s14
.LBB2_189:                              ;   in Loop: Header=BB2_134 Depth=1
	s_or_b32 exec_lo, exec_lo, s5
	s_clause 0x1
	global_load_dwordx2 v[31:32], v4, s[6:7] offset:40
	global_load_dwordx4 v[23:26], v4, s[6:7]
	v_readfirstlane_b32 s15, v28
	v_readfirstlane_b32 s14, v27
	s_mov_b32 s5, exec_lo
	s_waitcnt vmcnt(1)
	v_readfirstlane_b32 s16, v31
	v_readfirstlane_b32 s17, v32
	s_and_b64 s[16:17], s[16:17], s[14:15]
	s_mul_i32 s18, s17, 24
	s_mul_hi_u32 s19, s16, 24
	s_mul_i32 s20, s16, 24
	s_add_i32 s19, s19, s18
	s_waitcnt vmcnt(0)
	v_add_co_u32 v27, vcc_lo, v23, s20
	v_add_co_ci_u32_e64 v28, null, s19, v24, vcc_lo
	s_and_saveexec_b32 s18, s4
	s_cbranch_execz .LBB2_191
; %bb.190:                              ;   in Loop: Header=BB2_134 Depth=1
	v_mov_b32_e32 v3, s5
	global_store_dwordx4 v[27:28], v[3:6], off offset:8
.LBB2_191:                              ;   in Loop: Header=BB2_134 Depth=1
	s_or_b32 exec_lo, exec_lo, s18
	v_cmp_gt_u64_e64 s5, s[10:11], 56
	s_lshl_b64 s[16:17], s[16:17], 12
	v_and_b32_e32 v3, 0xffffff1f, v7
	v_add_co_u32 v25, vcc_lo, v25, s16
	v_add_co_ci_u32_e64 v26, null, s17, v26, vcc_lo
	s_and_b32 s5, s5, exec_lo
	s_cselect_b32 s5, 0, 2
	s_lshl_b32 s18, s12, 2
	v_or_b32_e32 v3, s5, v3
	v_readfirstlane_b32 s16, v25
	v_readfirstlane_b32 s17, v26
	s_add_i32 s18, s18, 28
	v_and_or_b32 v7, 0x1e0, s18, v3
	global_store_dwordx4 v29, v[11:14], s[16:17] offset:16
	global_store_dwordx4 v29, v[15:18], s[16:17] offset:32
	global_store_dwordx4 v29, v[7:10], s[16:17]
	global_store_dwordx4 v29, v[19:22], s[16:17] offset:48
	s_and_saveexec_b32 s5, s4
	s_cbranch_execz .LBB2_199
; %bb.192:                              ;   in Loop: Header=BB2_134 Depth=1
	s_clause 0x1
	global_load_dwordx2 v[15:16], v4, s[6:7] offset:32 glc dlc
	global_load_dwordx2 v[7:8], v4, s[6:7] offset:40
	v_mov_b32_e32 v13, s14
	v_mov_b32_e32 v14, s15
	s_waitcnt vmcnt(0)
	v_readfirstlane_b32 s16, v7
	v_readfirstlane_b32 s17, v8
	s_and_b64 s[16:17], s[16:17], s[14:15]
	s_mul_i32 s17, s17, 24
	s_mul_hi_u32 s18, s16, 24
	s_mul_i32 s16, s16, 24
	s_add_i32 s18, s18, s17
	v_add_co_u32 v11, vcc_lo, v23, s16
	v_add_co_ci_u32_e64 v12, null, s18, v24, vcc_lo
	s_mov_b32 s16, exec_lo
	global_store_dwordx2 v[11:12], v[15:16], off
	s_waitcnt_vscnt null, 0x0
	global_atomic_cmpswap_x2 v[9:10], v4, v[13:16], s[6:7] offset:32 glc
	s_waitcnt vmcnt(0)
	v_cmpx_ne_u64_e64 v[9:10], v[15:16]
	s_cbranch_execz .LBB2_195
; %bb.193:                              ;   in Loop: Header=BB2_134 Depth=1
	s_mov_b32 s17, 0
.LBB2_194:                              ;   Parent Loop BB2_134 Depth=1
                                        ; =>  This Inner Loop Header: Depth=2
	v_mov_b32_e32 v7, s14
	v_mov_b32_e32 v8, s15
	s_sleep 1
	global_store_dwordx2 v[11:12], v[9:10], off
	s_waitcnt_vscnt null, 0x0
	global_atomic_cmpswap_x2 v[7:8], v4, v[7:10], s[6:7] offset:32 glc
	s_waitcnt vmcnt(0)
	v_cmp_eq_u64_e32 vcc_lo, v[7:8], v[9:10]
	v_mov_b32_e32 v10, v8
	v_mov_b32_e32 v9, v7
	s_or_b32 s17, vcc_lo, s17
	s_andn2_b32 exec_lo, exec_lo, s17
	s_cbranch_execnz .LBB2_194
.LBB2_195:                              ;   in Loop: Header=BB2_134 Depth=1
	s_or_b32 exec_lo, exec_lo, s16
	global_load_dwordx2 v[7:8], v4, s[6:7] offset:16
	s_mov_b32 s17, exec_lo
	s_mov_b32 s16, exec_lo
	v_mbcnt_lo_u32_b32 v3, s17, 0
	v_cmpx_eq_u32_e32 0, v3
	s_cbranch_execz .LBB2_197
; %bb.196:                              ;   in Loop: Header=BB2_134 Depth=1
	s_bcnt1_i32_b32 s17, s17
	v_mov_b32_e32 v3, s17
	s_waitcnt vmcnt(0)
	global_atomic_add_x2 v[7:8], v[3:4], off offset:8
.LBB2_197:                              ;   in Loop: Header=BB2_134 Depth=1
	s_or_b32 exec_lo, exec_lo, s16
	s_waitcnt vmcnt(0)
	global_load_dwordx2 v[9:10], v[7:8], off offset:16
	s_waitcnt vmcnt(0)
	v_cmp_eq_u64_e32 vcc_lo, 0, v[9:10]
	s_cbranch_vccnz .LBB2_199
; %bb.198:                              ;   in Loop: Header=BB2_134 Depth=1
	global_load_dword v3, v[7:8], off offset:24
	s_waitcnt vmcnt(0)
	v_readfirstlane_b32 s16, v3
	s_waitcnt_vscnt null, 0x0
	global_store_dwordx2 v[9:10], v[3:4], off
	s_and_b32 m0, s16, 0x7fffff
	s_sendmsg sendmsg(MSG_INTERRUPT)
.LBB2_199:                              ;   in Loop: Header=BB2_134 Depth=1
	s_or_b32 exec_lo, exec_lo, s5
	v_add_co_u32 v7, vcc_lo, v25, v29
	v_add_co_ci_u32_e64 v8, null, 0, v26, vcc_lo
	s_branch .LBB2_201
	.p2align	6
.LBB2_200:                              ;   in Loop: Header=BB2_134 Depth=1
	s_branch .LBB2_205
.LBB2_201:                              ;   Parent Loop BB2_134 Depth=1
                                        ; =>  This Inner Loop Header: Depth=2
	v_mov_b32_e32 v3, 1
	s_and_saveexec_b32 s5, s4
	s_cbranch_execz .LBB2_203
; %bb.202:                              ;   in Loop: Header=BB2_201 Depth=2
	global_load_dword v3, v[27:28], off offset:20 glc dlc
	s_waitcnt vmcnt(0)
	buffer_gl1_inv
	buffer_gl0_inv
	v_and_b32_e32 v3, 1, v3
.LBB2_203:                              ;   in Loop: Header=BB2_201 Depth=2
	s_or_b32 exec_lo, exec_lo, s5
	v_readfirstlane_b32 s5, v3
	s_cmp_eq_u32 s5, 0
	s_cbranch_scc1 .LBB2_200
; %bb.204:                              ;   in Loop: Header=BB2_201 Depth=2
	s_sleep 1
	s_cbranch_execnz .LBB2_201
.LBB2_205:                              ;   in Loop: Header=BB2_134 Depth=1
	global_load_dwordx4 v[7:10], v[7:8], off
	s_and_saveexec_b32 s16, s4
	s_cbranch_execz .LBB2_133
; %bb.206:                              ;   in Loop: Header=BB2_134 Depth=1
	s_clause 0x2
	global_load_dwordx2 v[9:10], v4, s[6:7] offset:40
	global_load_dwordx2 v[17:18], v4, s[6:7] offset:24 glc dlc
	global_load_dwordx2 v[11:12], v4, s[6:7]
	s_waitcnt vmcnt(2)
	v_readfirstlane_b32 s18, v9
	v_readfirstlane_b32 s19, v10
	s_add_u32 s17, s18, 1
	s_addc_u32 s20, s19, 0
	s_add_u32 s4, s17, s14
	s_addc_u32 s5, s20, s15
	s_cmp_eq_u64 s[4:5], 0
	s_cselect_b32 s5, s20, s5
	s_cselect_b32 s4, s17, s4
	v_mov_b32_e32 v16, s5
	s_and_b64 s[14:15], s[4:5], s[18:19]
	v_mov_b32_e32 v15, s4
	s_mul_i32 s15, s15, 24
	s_mul_hi_u32 s17, s14, 24
	s_mul_i32 s14, s14, 24
	s_add_i32 s17, s17, s15
	s_waitcnt vmcnt(0)
	v_add_co_u32 v13, vcc_lo, v11, s14
	v_add_co_ci_u32_e64 v14, null, s17, v12, vcc_lo
	global_store_dwordx2 v[13:14], v[17:18], off
	s_waitcnt_vscnt null, 0x0
	global_atomic_cmpswap_x2 v[11:12], v4, v[15:18], s[6:7] offset:24 glc
	s_waitcnt vmcnt(0)
	v_cmp_ne_u64_e32 vcc_lo, v[11:12], v[17:18]
	s_and_b32 exec_lo, exec_lo, vcc_lo
	s_cbranch_execz .LBB2_133
; %bb.207:                              ;   in Loop: Header=BB2_134 Depth=1
	s_mov_b32 s14, 0
.LBB2_208:                              ;   Parent Loop BB2_134 Depth=1
                                        ; =>  This Inner Loop Header: Depth=2
	v_mov_b32_e32 v9, s4
	v_mov_b32_e32 v10, s5
	s_sleep 1
	global_store_dwordx2 v[13:14], v[11:12], off
	s_waitcnt_vscnt null, 0x0
	global_atomic_cmpswap_x2 v[9:10], v4, v[9:12], s[6:7] offset:24 glc
	s_waitcnt vmcnt(0)
	v_cmp_eq_u64_e32 vcc_lo, v[9:10], v[11:12]
	v_mov_b32_e32 v12, v10
	v_mov_b32_e32 v11, v9
	s_or_b32 s14, vcc_lo, s14
	s_andn2_b32 exec_lo, exec_lo, s14
	s_cbranch_execnz .LBB2_208
	s_branch .LBB2_133
.LBB2_209:
	s_or_b32 exec_lo, exec_lo, s16
	s_mov_b32 s21, exec_lo
	s_orn2_b32 s4, s15, exec_lo
	s_or_b32 exec_lo, exec_lo, s12
	s_mov_b32 s48, s36
	s_and_saveexec_b32 s22, s4
	s_cbranch_execz .LBB2_48
	s_branch .LBB2_47
.LBB2_210:
	s_mov_b32 s4, 0
	s_branch .LBB2_212
.LBB2_211:
	s_mov_b32 s4, -1
.LBB2_212:
	v_mov_b32_e32 v52, v0
	s_and_b32 vcc_lo, exec_lo, s4
	s_cbranch_vccz .LBB2_240
; %bb.213:
	v_readfirstlane_b32 s4, v30
	s_waitcnt vmcnt(0)
	v_mov_b32_e32 v9, 0
	v_mov_b32_e32 v10, 0
	v_cmp_eq_u32_e64 s4, s4, v30
	s_and_saveexec_b32 s5, s4
	s_cbranch_execz .LBB2_219
; %bb.214:
	v_mov_b32_e32 v0, 0
	s_mov_b32 s8, exec_lo
	global_load_dwordx2 v[5:6], v0, s[6:7] offset:24 glc dlc
	s_waitcnt vmcnt(0)
	buffer_gl1_inv
	buffer_gl0_inv
	s_clause 0x1
	global_load_dwordx2 v[3:4], v0, s[6:7] offset:40
	global_load_dwordx2 v[7:8], v0, s[6:7]
	s_waitcnt vmcnt(1)
	v_and_b32_e32 v4, v4, v6
	v_and_b32_e32 v3, v3, v5
	v_mul_lo_u32 v4, v4, 24
	v_mul_hi_u32 v9, v3, 24
	v_mul_lo_u32 v3, v3, 24
	v_add_nc_u32_e32 v4, v9, v4
	s_waitcnt vmcnt(0)
	v_add_co_u32 v3, vcc_lo, v7, v3
	v_add_co_ci_u32_e64 v4, null, v8, v4, vcc_lo
	global_load_dwordx2 v[3:4], v[3:4], off glc dlc
	s_waitcnt vmcnt(0)
	global_atomic_cmpswap_x2 v[9:10], v0, v[3:6], s[6:7] offset:24 glc
	s_waitcnt vmcnt(0)
	buffer_gl1_inv
	buffer_gl0_inv
	v_cmpx_ne_u64_e64 v[9:10], v[5:6]
	s_cbranch_execz .LBB2_218
; %bb.215:
	s_mov_b32 s9, 0
.LBB2_216:                              ; =>This Inner Loop Header: Depth=1
	s_sleep 1
	s_clause 0x1
	global_load_dwordx2 v[3:4], v0, s[6:7] offset:40
	global_load_dwordx2 v[7:8], v0, s[6:7]
	v_mov_b32_e32 v5, v9
	v_mov_b32_e32 v6, v10
	s_waitcnt vmcnt(1)
	v_and_b32_e32 v3, v3, v5
	v_and_b32_e32 v4, v4, v6
	s_waitcnt vmcnt(0)
	v_mad_u64_u32 v[7:8], null, v3, 24, v[7:8]
	v_mov_b32_e32 v3, v8
	v_mad_u64_u32 v[3:4], null, v4, 24, v[3:4]
	v_mov_b32_e32 v8, v3
	global_load_dwordx2 v[3:4], v[7:8], off glc dlc
	s_waitcnt vmcnt(0)
	global_atomic_cmpswap_x2 v[9:10], v0, v[3:6], s[6:7] offset:24 glc
	s_waitcnt vmcnt(0)
	buffer_gl1_inv
	buffer_gl0_inv
	v_cmp_eq_u64_e32 vcc_lo, v[9:10], v[5:6]
	s_or_b32 s9, vcc_lo, s9
	s_andn2_b32 exec_lo, exec_lo, s9
	s_cbranch_execnz .LBB2_216
; %bb.217:
	s_or_b32 exec_lo, exec_lo, s9
.LBB2_218:
	s_or_b32 exec_lo, exec_lo, s8
.LBB2_219:
	s_or_b32 exec_lo, exec_lo, s5
	v_mov_b32_e32 v3, 0
	v_readfirstlane_b32 s9, v10
	v_readfirstlane_b32 s8, v9
	s_mov_b32 s5, exec_lo
	s_clause 0x1
	global_load_dwordx2 v[11:12], v3, s[6:7] offset:40
	global_load_dwordx4 v[5:8], v3, s[6:7]
	s_waitcnt vmcnt(1)
	v_readfirstlane_b32 s10, v11
	v_readfirstlane_b32 s11, v12
	s_and_b64 s[10:11], s[10:11], s[8:9]
	s_mul_i32 s12, s11, 24
	s_mul_hi_u32 s13, s10, 24
	s_mul_i32 s14, s10, 24
	s_add_i32 s13, s13, s12
	s_waitcnt vmcnt(0)
	v_add_co_u32 v9, vcc_lo, v5, s14
	v_add_co_ci_u32_e64 v10, null, s13, v6, vcc_lo
	s_and_saveexec_b32 s12, s4
	s_cbranch_execz .LBB2_221
; %bb.220:
	v_mov_b32_e32 v11, s5
	v_mov_b32_e32 v12, v3
	;; [unrolled: 1-line block ×4, first 2 shown]
	global_store_dwordx4 v[9:10], v[11:14], off offset:8
.LBB2_221:
	s_or_b32 exec_lo, exec_lo, s12
	s_lshl_b64 s[10:11], s[10:11], 12
	s_mov_b32 s12, 0
	v_add_co_u32 v0, vcc_lo, v7, s10
	v_add_co_ci_u32_e64 v7, null, s11, v8, vcc_lo
	s_mov_b32 s13, s12
	s_mov_b32 s14, s12
	s_mov_b32 s15, s12
	v_and_or_b32 v1, 0xffffff1d, v1, 34
	v_mov_b32_e32 v4, v3
	v_readfirstlane_b32 s10, v0
	v_readfirstlane_b32 s11, v7
	v_mov_b32_e32 v11, s12
	v_mov_b32_e32 v12, s13
	;; [unrolled: 1-line block ×4, first 2 shown]
	global_store_dwordx4 v29, v[1:4], s[10:11]
	global_store_dwordx4 v29, v[11:14], s[10:11] offset:16
	global_store_dwordx4 v29, v[11:14], s[10:11] offset:32
	;; [unrolled: 1-line block ×3, first 2 shown]
	s_and_saveexec_b32 s5, s4
	s_cbranch_execz .LBB2_229
; %bb.222:
	v_mov_b32_e32 v7, 0
	v_mov_b32_e32 v11, s8
	v_mov_b32_e32 v12, s9
	s_clause 0x1
	global_load_dwordx2 v[13:14], v7, s[6:7] offset:32 glc dlc
	global_load_dwordx2 v[0:1], v7, s[6:7] offset:40
	s_waitcnt vmcnt(0)
	v_readfirstlane_b32 s10, v0
	v_readfirstlane_b32 s11, v1
	s_and_b64 s[10:11], s[10:11], s[8:9]
	s_mul_i32 s11, s11, 24
	s_mul_hi_u32 s12, s10, 24
	s_mul_i32 s10, s10, 24
	s_add_i32 s12, s12, s11
	v_add_co_u32 v4, vcc_lo, v5, s10
	v_add_co_ci_u32_e64 v5, null, s12, v6, vcc_lo
	s_mov_b32 s10, exec_lo
	global_store_dwordx2 v[4:5], v[13:14], off
	s_waitcnt_vscnt null, 0x0
	global_atomic_cmpswap_x2 v[2:3], v7, v[11:14], s[6:7] offset:32 glc
	s_waitcnt vmcnt(0)
	v_cmpx_ne_u64_e64 v[2:3], v[13:14]
	s_cbranch_execz .LBB2_225
; %bb.223:
	s_mov_b32 s11, 0
.LBB2_224:                              ; =>This Inner Loop Header: Depth=1
	v_mov_b32_e32 v0, s8
	v_mov_b32_e32 v1, s9
	s_sleep 1
	global_store_dwordx2 v[4:5], v[2:3], off
	s_waitcnt_vscnt null, 0x0
	global_atomic_cmpswap_x2 v[0:1], v7, v[0:3], s[6:7] offset:32 glc
	s_waitcnt vmcnt(0)
	v_cmp_eq_u64_e32 vcc_lo, v[0:1], v[2:3]
	v_mov_b32_e32 v3, v1
	v_mov_b32_e32 v2, v0
	s_or_b32 s11, vcc_lo, s11
	s_andn2_b32 exec_lo, exec_lo, s11
	s_cbranch_execnz .LBB2_224
.LBB2_225:
	s_or_b32 exec_lo, exec_lo, s10
	v_mov_b32_e32 v3, 0
	s_mov_b32 s11, exec_lo
	s_mov_b32 s10, exec_lo
	v_mbcnt_lo_u32_b32 v2, s11, 0
	global_load_dwordx2 v[0:1], v3, s[6:7] offset:16
	v_cmpx_eq_u32_e32 0, v2
	s_cbranch_execz .LBB2_227
; %bb.226:
	s_bcnt1_i32_b32 s11, s11
	v_mov_b32_e32 v2, s11
	s_waitcnt vmcnt(0)
	global_atomic_add_x2 v[0:1], v[2:3], off offset:8
.LBB2_227:
	s_or_b32 exec_lo, exec_lo, s10
	s_waitcnt vmcnt(0)
	global_load_dwordx2 v[2:3], v[0:1], off offset:16
	s_waitcnt vmcnt(0)
	v_cmp_eq_u64_e32 vcc_lo, 0, v[2:3]
	s_cbranch_vccnz .LBB2_229
; %bb.228:
	global_load_dword v0, v[0:1], off offset:24
	v_mov_b32_e32 v1, 0
	s_waitcnt vmcnt(0)
	v_readfirstlane_b32 s10, v0
	s_waitcnt_vscnt null, 0x0
	global_store_dwordx2 v[2:3], v[0:1], off
	s_and_b32 m0, s10, 0x7fffff
	s_sendmsg sendmsg(MSG_INTERRUPT)
.LBB2_229:
	s_or_b32 exec_lo, exec_lo, s5
	s_branch .LBB2_231
.LBB2_230:
	s_branch .LBB2_235
.LBB2_231:                              ; =>This Inner Loop Header: Depth=1
	v_mov_b32_e32 v0, 1
	s_and_saveexec_b32 s5, s4
	s_cbranch_execz .LBB2_233
; %bb.232:                              ;   in Loop: Header=BB2_231 Depth=1
	global_load_dword v0, v[9:10], off offset:20 glc dlc
	s_waitcnt vmcnt(0)
	buffer_gl1_inv
	buffer_gl0_inv
	v_and_b32_e32 v0, 1, v0
.LBB2_233:                              ;   in Loop: Header=BB2_231 Depth=1
	s_or_b32 exec_lo, exec_lo, s5
	v_readfirstlane_b32 s5, v0
	s_cmp_eq_u32 s5, 0
	s_cbranch_scc1 .LBB2_230
; %bb.234:                              ;   in Loop: Header=BB2_231 Depth=1
	s_sleep 1
	s_cbranch_execnz .LBB2_231
.LBB2_235:
	s_and_saveexec_b32 s10, s4
	s_cbranch_execz .LBB2_239
; %bb.236:
	v_mov_b32_e32 v6, 0
	s_clause 0x2
	global_load_dwordx2 v[0:1], v6, s[6:7] offset:40
	global_load_dwordx2 v[9:10], v6, s[6:7] offset:24 glc dlc
	global_load_dwordx2 v[2:3], v6, s[6:7]
	s_waitcnt vmcnt(2)
	v_readfirstlane_b32 s12, v0
	v_readfirstlane_b32 s13, v1
	s_add_u32 s11, s12, 1
	s_addc_u32 s14, s13, 0
	s_add_u32 s4, s11, s8
	s_addc_u32 s5, s14, s9
	s_cmp_eq_u64 s[4:5], 0
	s_cselect_b32 s5, s14, s5
	s_cselect_b32 s4, s11, s4
	v_mov_b32_e32 v8, s5
	s_and_b64 s[8:9], s[4:5], s[12:13]
	v_mov_b32_e32 v7, s4
	s_mul_i32 s9, s9, 24
	s_mul_hi_u32 s11, s8, 24
	s_mul_i32 s8, s8, 24
	s_add_i32 s11, s11, s9
	s_waitcnt vmcnt(0)
	v_add_co_u32 v4, vcc_lo, v2, s8
	v_add_co_ci_u32_e64 v5, null, s11, v3, vcc_lo
	global_store_dwordx2 v[4:5], v[9:10], off
	s_waitcnt_vscnt null, 0x0
	global_atomic_cmpswap_x2 v[2:3], v6, v[7:10], s[6:7] offset:24 glc
	s_waitcnt vmcnt(0)
	v_cmp_ne_u64_e32 vcc_lo, v[2:3], v[9:10]
	s_and_b32 exec_lo, exec_lo, vcc_lo
	s_cbranch_execz .LBB2_239
; %bb.237:
	s_mov_b32 s8, 0
.LBB2_238:                              ; =>This Inner Loop Header: Depth=1
	v_mov_b32_e32 v0, s4
	v_mov_b32_e32 v1, s5
	s_sleep 1
	global_store_dwordx2 v[4:5], v[2:3], off
	s_waitcnt_vscnt null, 0x0
	global_atomic_cmpswap_x2 v[0:1], v6, v[0:3], s[6:7] offset:24 glc
	s_waitcnt vmcnt(0)
	v_cmp_eq_u64_e32 vcc_lo, v[0:1], v[2:3]
	v_mov_b32_e32 v3, v1
	v_mov_b32_e32 v2, v0
	s_or_b32 s8, vcc_lo, s8
	s_andn2_b32 exec_lo, exec_lo, s8
	s_cbranch_execnz .LBB2_238
.LBB2_239:
	s_or_b32 exec_lo, exec_lo, s10
.LBB2_240:
	s_getpc_b64 s[4:5]
	s_add_u32 s4, s4, .str.29@rel32@lo+4
	s_addc_u32 s5, s5, .str.29@rel32@hi+12
	s_getpc_b64 s[6:7]
	s_add_u32 s6, s6, .str.19@rel32@lo+4
	s_addc_u32 s7, s7, .str.19@rel32@hi+12
	s_getpc_b64 s[8:9]
	s_add_u32 s8, s8, __PRETTY_FUNCTION__._ZN7VecsMemIjLi8192EE5fetchEi@rel32@lo+4
	s_addc_u32 s9, s9, __PRETTY_FUNCTION__._ZN7VecsMemIjLi8192EE5fetchEi@rel32@hi+12
	v_mov_b32_e32 v0, s4
	s_waitcnt vmcnt(0)
	v_mov_b32_e32 v1, s5
	v_mov_b32_e32 v2, s6
	v_mov_b32_e32 v3, s7
	v_mov_b32_e32 v4, 12
	v_mov_b32_e32 v5, s8
	v_mov_b32_e32 v6, s9
	s_getpc_b64 s[10:11]
	s_add_u32 s10, s10, __assert_fail@rel32@lo+4
	s_addc_u32 s11, s11, __assert_fail@rel32@hi+12
	s_mov_b64 s[8:9], s[34:35]
	s_swappc_b64 s[30:31], s[10:11]
	v_mov_b32_e32 v0, v52
	s_or_b32 s4, s48, exec_lo
.LBB2_241:
	s_or_b32 exec_lo, exec_lo, s24
	s_andn2_b32 s5, s48, exec_lo
	s_and_b32 s4, s4, exec_lo
	s_or_b32 s24, s5, s4
	s_orn2_b32 s4, s23, exec_lo
.LBB2_242:
	s_or_b32 exec_lo, exec_lo, s22
                                        ; implicit-def: $vgpr64
                                        ; implicit-def: $vgpr52
	s_and_saveexec_b32 s22, s4
	s_cbranch_execz .LBB2_264
; %bb.243:
	s_mov_b32 s23, 0
	s_mov_b32 s25, s24
	flat_store_dwordx2 v[41:42], v[53:54] offset:8
                                        ; implicit-def: $vgpr64
                                        ; implicit-def: $vgpr52
	s_mov_b32 s4, exec_lo
	v_cmpx_ne_u64_e32 0, v[53:54]
	s_xor_b32 s21, exec_lo, s4
	s_cbranch_execz .LBB2_261
; %bb.244:
	v_mov_b32_e32 v1, 0
	v_lshlrev_b32_e32 v5, 1, v43
	s_mov_b32 s5, exec_lo
	v_cmpx_lt_i32_e32 0, v66
	s_cbranch_execz .LBB2_248
; %bb.245:
	s_clause 0x1
	buffer_load_dword v1, off, s[0:3], s33 offset:56
	buffer_load_dword v2, off, s[0:3], s33 offset:60
	v_mov_b32_e32 v3, v53
	v_lshlrev_b32_e64 v6, v5, 1
	v_mov_b32_e32 v7, v66
	v_mov_b32_e32 v4, v54
	s_mov_b32 s6, 0
	.p2align	6
.LBB2_246:                              ; =>This Inner Loop Header: Depth=1
	s_waitcnt vmcnt(0)
	flat_load_dword v8, v[1:2]
	v_add_nc_u32_e32 v7, -1, v7
	v_add_co_u32 v1, vcc_lo, v1, 4
	v_add_co_ci_u32_e64 v2, null, 0, v2, vcc_lo
	v_cmp_eq_u32_e32 vcc_lo, 0, v7
	s_or_b32 s6, vcc_lo, s6
	s_waitcnt vmcnt(0) lgkmcnt(0)
	v_or_b32_e32 v8, v8, v6
	flat_store_dword v[3:4], v8
	v_add_co_u32 v3, s4, v3, 4
	v_add_co_ci_u32_e64 v4, null, 0, v4, s4
	s_andn2_b32 exec_lo, exec_lo, s6
	s_cbranch_execnz .LBB2_246
; %bb.247:
	s_or_b32 exec_lo, exec_lo, s6
	v_mov_b32_e32 v1, v66
.LBB2_248:
	s_or_b32 exec_lo, exec_lo, s5
	s_mov_b32 s6, 0
	s_mov_b32 s5, exec_lo
	v_cmpx_lt_i32_e32 0, v65
	s_cbranch_execz .LBB2_252
; %bb.249:
	s_clause 0x1
	buffer_load_dword v3, off, s[0:3], s33 offset:72
	buffer_load_dword v4, off, s[0:3], s33 offset:76
	v_mov_b32_e32 v2, 0
	v_lshlrev_b64 v[6:7], 2, v[1:2]
	v_lshlrev_b32_e64 v2, v5, 2
	v_add_nc_u32_e32 v1, v65, v1
	v_add_co_u32 v5, vcc_lo, v53, v6
	v_add_co_ci_u32_e64 v6, null, v54, v7, vcc_lo
	.p2align	6
.LBB2_250:                              ; =>This Inner Loop Header: Depth=1
	s_waitcnt vmcnt(0)
	flat_load_dword v7, v[3:4]
	v_add_nc_u32_e32 v65, -1, v65
	v_add_co_u32 v3, vcc_lo, v3, 4
	v_add_co_ci_u32_e64 v4, null, 0, v4, vcc_lo
	v_cmp_eq_u32_e32 vcc_lo, 0, v65
	s_or_b32 s6, vcc_lo, s6
	s_waitcnt vmcnt(0) lgkmcnt(0)
	v_or_b32_e32 v7, v7, v2
	flat_store_dword v[5:6], v7
	v_add_co_u32 v5, s4, v5, 4
	v_add_co_ci_u32_e64 v6, null, 0, v6, s4
	s_andn2_b32 exec_lo, exec_lo, s6
	s_cbranch_execnz .LBB2_250
; %bb.251:
	s_or_b32 exec_lo, exec_lo, s6
.LBB2_252:
	s_or_b32 exec_lo, exec_lo, s5
	s_mov_b32 s6, 0
	s_mov_b32 s5, exec_lo
	v_cmpx_lt_i32_e32 0, v55
	s_cbranch_execz .LBB2_256
; %bb.253:
	s_clause 0x1
	buffer_load_dword v3, off, s[0:3], s33 offset:88
	buffer_load_dword v4, off, s[0:3], s33 offset:92
	v_mov_b32_e32 v2, 0
	v_lshlrev_b64 v[5:6], 2, v[1:2]
	v_add_nc_u32_e32 v1, v1, v55
	v_add_co_u32 v5, vcc_lo, v53, v5
	v_add_co_ci_u32_e64 v6, null, v54, v6, vcc_lo
	.p2align	6
.LBB2_254:                              ; =>This Inner Loop Header: Depth=1
	s_waitcnt vmcnt(0)
	flat_load_dword v2, v[3:4]
	v_add_nc_u32_e32 v55, -1, v55
	v_add_co_u32 v3, vcc_lo, v3, 4
	v_add_co_ci_u32_e64 v4, null, 0, v4, vcc_lo
	v_cmp_eq_u32_e32 vcc_lo, 0, v55
	s_or_b32 s6, vcc_lo, s6
	s_waitcnt vmcnt(0) lgkmcnt(0)
	flat_store_dword v[5:6], v2
	v_add_co_u32 v5, s4, v5, 4
	v_add_co_ci_u32_e64 v6, null, 0, v6, s4
	s_andn2_b32 exec_lo, exec_lo, s6
	s_cbranch_execnz .LBB2_254
; %bb.255:
	s_or_b32 exec_lo, exec_lo, s6
.LBB2_256:
	s_or_b32 exec_lo, exec_lo, s5
	flat_load_dword v2, v[41:42] offset:4
	s_mov_b32 s4, s24
	s_mov_b32 s5, exec_lo
	s_waitcnt vmcnt(0) lgkmcnt(0)
	v_cmpx_ne_u32_e64 v1, v2
	s_xor_b32 s23, exec_lo, s5
	s_cbranch_execz .LBB2_258
; %bb.257:
	s_getpc_b64 s[4:5]
	s_add_u32 s4, s4, .str.23@rel32@lo+4
	s_addc_u32 s5, s5, .str.23@rel32@hi+12
	s_getpc_b64 s[6:7]
	s_add_u32 s6, s6, .str.16@rel32@lo+4
	s_addc_u32 s7, s7, .str.16@rel32@hi+12
	s_getpc_b64 s[8:9]
	s_add_u32 s8, s8, __PRETTY_FUNCTION__._ZN3sop14minatoIsop5RecEjjiPNS_3SopEP7VecsMemIjLi8192EE@rel32@lo+4
	s_addc_u32 s9, s9, __PRETTY_FUNCTION__._ZN3sop14minatoIsop5RecEjjiPNS_3SopEP7VecsMemIjLi8192EE@rel32@hi+12
	v_mov_b32_e32 v0, s4
	v_mov_b32_e32 v1, s5
	;; [unrolled: 1-line block ×7, first 2 shown]
	s_getpc_b64 s[10:11]
	s_add_u32 s10, s10, __assert_fail@rel32@lo+4
	s_addc_u32 s11, s11, __assert_fail@rel32@hi+12
	s_mov_b64 s[8:9], s[34:35]
	s_swappc_b64 s[30:31], s[10:11]
	s_or_b32 s4, s24, exec_lo
                                        ; implicit-def: $vgpr43
                                        ; implicit-def: $vgpr46
                                        ; implicit-def: $vgpr47
                                        ; implicit-def: $vgpr0
.LBB2_258:
	s_or_saveexec_b32 s5, s23
	s_mov_b32 s6, 0
                                        ; implicit-def: $vgpr64
                                        ; implicit-def: $vgpr52
	s_xor_b32 exec_lo, exec_lo, s5
	s_cbranch_execz .LBB2_260
; %bb.259:
	v_mov_b32_e32 v44, 0
	s_getpc_b64 s[8:9]
	s_add_u32 s8, s8, __const._ZN3sop14minatoIsop5RecEjjiPNS_3SopEP7VecsMemIjLi8192EE.uMasks@rel32@lo+4
	s_addc_u32 s9, s9, __const._ZN3sop14minatoIsop5RecEjjiPNS_3SopEP7VecsMemIjLi8192EE.uMasks@rel32@hi+12
	s_mov_b32 s6, exec_lo
	v_lshlrev_b64 v[1:2], 2, v[43:44]
	v_add_co_u32 v1, vcc_lo, s8, v1
	v_add_co_ci_u32_e64 v2, null, s9, v2, vcc_lo
	global_load_dword v1, v[1:2], off
	s_waitcnt vmcnt(0)
	v_bfi_b32 v2, v1, 0, v46
	v_and_b32_e32 v1, v1, v47
	v_or3_b32 v64, v1, v0, v2
	v_mov_b32_e32 v52, v64
.LBB2_260:
	s_or_b32 exec_lo, exec_lo, s5
	s_andn2_b32 s5, s24, exec_lo
	s_and_b32 s4, s4, exec_lo
	s_and_b32 s23, s6, exec_lo
	s_or_b32 s25, s5, s4
.LBB2_261:
	s_andn2_saveexec_b32 s21, s21
	s_cbranch_execz .LBB2_263
; %bb.262:
	s_getpc_b64 s[4:5]
	s_add_u32 s4, s4, .str.20@rel32@lo+4
	s_addc_u32 s5, s5, .str.20@rel32@hi+12
	s_getpc_b64 s[6:7]
	s_add_u32 s6, s6, .str.16@rel32@lo+4
	s_addc_u32 s7, s7, .str.16@rel32@hi+12
	s_getpc_b64 s[8:9]
	s_add_u32 s8, s8, __PRETTY_FUNCTION__._ZN3sop14minatoIsop5RecEjjiPNS_3SopEP7VecsMemIjLi8192EE@rel32@lo+4
	s_addc_u32 s9, s9, __PRETTY_FUNCTION__._ZN3sop14minatoIsop5RecEjjiPNS_3SopEP7VecsMemIjLi8192EE@rel32@hi+12
	v_mov_b32_e32 v0, s4
	v_mov_b32_e32 v1, s5
	;; [unrolled: 1-line block ×7, first 2 shown]
	s_getpc_b64 s[10:11]
	s_add_u32 s10, s10, __assert_fail@rel32@lo+4
	s_addc_u32 s11, s11, __assert_fail@rel32@hi+12
	s_mov_b64 s[8:9], s[34:35]
	s_swappc_b64 s[30:31], s[10:11]
	s_or_b32 s25, s25, exec_lo
.LBB2_263:
	s_or_b32 exec_lo, exec_lo, s21
	s_andn2_b32 s4, s24, exec_lo
	s_and_b32 s5, s25, exec_lo
	s_and_b32 s21, s23, exec_lo
	s_or_b32 s24, s4, s5
.LBB2_264:
	s_or_b32 exec_lo, exec_lo, s22
	s_andn2_b32 s5, s48, exec_lo
	s_and_b32 s6, s24, exec_lo
	s_and_b32 s4, s21, exec_lo
	s_or_b32 s48, s5, s6
.LBB2_265:
	s_or_b32 exec_lo, exec_lo, s49
	s_andn2_b32 s5, s36, exec_lo
	s_and_b32 s6, s48, exec_lo
	s_and_b32 s22, s4, exec_lo
	s_or_b32 s21, s5, s6
                                        ; implicit-def: $vgpr44_vgpr45
.LBB2_266:
	s_andn2_saveexec_b32 s23, s39
	s_cbranch_execz .LBB2_405
; %bb.267:
	v_mov_b32_e32 v0, 0
	v_mov_b32_e32 v1, 1
	s_mov_b32 s24, s22
	s_mov_b32 s4, exec_lo
	flat_store_dwordx2 v[41:42], v[0:1]
	flat_load_dword v1, v[44:45]
	s_waitcnt vmcnt(0) lgkmcnt(0)
	v_cmpx_gt_i32_e32 0x2000, v1
	s_xor_b32 s4, exec_lo, s4
	s_cbranch_execz .LBB2_269
; %bb.268:
	v_ashrrev_i32_e32 v2, 31, v1
	s_or_b32 s24, s22, exec_lo
	v_lshlrev_b64 v[2:3], 2, v[1:2]
	v_add_nc_u32_e32 v1, 1, v1
	v_add_co_u32 v2, vcc_lo, v44, v2
	v_add_co_ci_u32_e64 v3, null, v45, v3, vcc_lo
	v_add_co_u32 v4, vcc_lo, v2, 4
	v_add_co_ci_u32_e64 v5, null, 0, v3, vcc_lo
	flat_store_dword v[44:45], v1
	flat_store_dwordx2 v[41:42], v[4:5] offset:8
	flat_store_dword v[2:3], v0 offset:4
.LBB2_269:
	s_or_saveexec_b32 s25, s4
	s_mov_b32 s4, s21
	s_xor_b32 exec_lo, exec_lo, s25
	s_cbranch_execz .LBB2_404
; %bb.270:
	s_load_dwordx2 s[6:7], s[34:35], 0x50
	v_mbcnt_lo_u32_b32 v29, -1, 0
	v_mov_b32_e32 v6, 0
	v_mov_b32_e32 v7, 0
	v_readfirstlane_b32 s4, v29
	v_cmp_eq_u32_e64 s4, s4, v29
	s_and_saveexec_b32 s5, s4
	s_cbranch_execz .LBB2_276
; %bb.271:
	v_mov_b32_e32 v0, 0
	s_mov_b32 s8, exec_lo
	s_waitcnt lgkmcnt(0)
	global_load_dwordx2 v[3:4], v0, s[6:7] offset:24 glc dlc
	s_waitcnt vmcnt(0)
	buffer_gl1_inv
	buffer_gl0_inv
	s_clause 0x1
	global_load_dwordx2 v[1:2], v0, s[6:7] offset:40
	global_load_dwordx2 v[5:6], v0, s[6:7]
	s_waitcnt vmcnt(1)
	v_and_b32_e32 v2, v2, v4
	v_and_b32_e32 v1, v1, v3
	v_mul_lo_u32 v2, v2, 24
	v_mul_hi_u32 v7, v1, 24
	v_mul_lo_u32 v1, v1, 24
	v_add_nc_u32_e32 v2, v7, v2
	s_waitcnt vmcnt(0)
	v_add_co_u32 v1, vcc_lo, v5, v1
	v_add_co_ci_u32_e64 v2, null, v6, v2, vcc_lo
	global_load_dwordx2 v[1:2], v[1:2], off glc dlc
	s_waitcnt vmcnt(0)
	global_atomic_cmpswap_x2 v[6:7], v0, v[1:4], s[6:7] offset:24 glc
	s_waitcnt vmcnt(0)
	buffer_gl1_inv
	buffer_gl0_inv
	v_cmpx_ne_u64_e64 v[6:7], v[3:4]
	s_cbranch_execz .LBB2_275
; %bb.272:
	s_mov_b32 s9, 0
	.p2align	6
.LBB2_273:                              ; =>This Inner Loop Header: Depth=1
	s_sleep 1
	s_clause 0x1
	global_load_dwordx2 v[1:2], v0, s[6:7] offset:40
	global_load_dwordx2 v[8:9], v0, s[6:7]
	v_mov_b32_e32 v3, v6
	v_mov_b32_e32 v4, v7
	s_waitcnt vmcnt(1)
	v_and_b32_e32 v1, v1, v3
	v_and_b32_e32 v2, v2, v4
	s_waitcnt vmcnt(0)
	v_mad_u64_u32 v[5:6], null, v1, 24, v[8:9]
	v_mov_b32_e32 v1, v6
	v_mad_u64_u32 v[1:2], null, v2, 24, v[1:2]
	v_mov_b32_e32 v6, v1
	global_load_dwordx2 v[1:2], v[5:6], off glc dlc
	s_waitcnt vmcnt(0)
	global_atomic_cmpswap_x2 v[6:7], v0, v[1:4], s[6:7] offset:24 glc
	s_waitcnt vmcnt(0)
	buffer_gl1_inv
	buffer_gl0_inv
	v_cmp_eq_u64_e32 vcc_lo, v[6:7], v[3:4]
	s_or_b32 s9, vcc_lo, s9
	s_andn2_b32 exec_lo, exec_lo, s9
	s_cbranch_execnz .LBB2_273
; %bb.274:
	s_or_b32 exec_lo, exec_lo, s9
.LBB2_275:
	s_or_b32 exec_lo, exec_lo, s8
.LBB2_276:
	s_or_b32 exec_lo, exec_lo, s5
	v_mov_b32_e32 v5, 0
	v_readfirstlane_b32 s9, v7
	v_readfirstlane_b32 s8, v6
	s_mov_b32 s5, exec_lo
	s_waitcnt lgkmcnt(0)
	s_clause 0x1
	global_load_dwordx2 v[8:9], v5, s[6:7] offset:40
	global_load_dwordx4 v[0:3], v5, s[6:7]
	s_waitcnt vmcnt(1)
	v_readfirstlane_b32 s10, v8
	v_readfirstlane_b32 s11, v9
	s_and_b64 s[10:11], s[10:11], s[8:9]
	s_mul_i32 s12, s11, 24
	s_mul_hi_u32 s13, s10, 24
	s_mul_i32 s14, s10, 24
	s_add_i32 s13, s13, s12
	s_waitcnt vmcnt(0)
	v_add_co_u32 v8, vcc_lo, v0, s14
	v_add_co_ci_u32_e64 v9, null, s13, v1, vcc_lo
	s_and_saveexec_b32 s12, s4
	s_cbranch_execz .LBB2_278
; %bb.277:
	v_mov_b32_e32 v4, s5
	v_mov_b32_e32 v6, 2
	;; [unrolled: 1-line block ×3, first 2 shown]
	global_store_dwordx4 v[8:9], v[4:7], off offset:8
.LBB2_278:
	s_or_b32 exec_lo, exec_lo, s12
	s_lshl_b64 s[10:11], s[10:11], 12
	v_lshlrev_b32_e32 v28, 6, v29
	v_add_co_u32 v2, vcc_lo, v2, s10
	v_add_co_ci_u32_e64 v3, null, s11, v3, vcc_lo
	s_mov_b32 s12, 0
	v_add_co_u32 v10, vcc_lo, v2, v28
	s_mov_b32 s13, s12
	s_mov_b32 s14, s12
	s_mov_b32 s15, s12
	v_mov_b32_e32 v4, 33
	v_mov_b32_e32 v6, v5
	;; [unrolled: 1-line block ×3, first 2 shown]
	v_readfirstlane_b32 s10, v2
	v_readfirstlane_b32 s11, v3
	v_mov_b32_e32 v12, s12
	v_add_co_ci_u32_e64 v11, null, 0, v3, vcc_lo
	v_mov_b32_e32 v13, s13
	v_mov_b32_e32 v14, s14
	;; [unrolled: 1-line block ×3, first 2 shown]
	global_store_dwordx4 v28, v[4:7], s[10:11]
	global_store_dwordx4 v28, v[12:15], s[10:11] offset:16
	global_store_dwordx4 v28, v[12:15], s[10:11] offset:32
	;; [unrolled: 1-line block ×3, first 2 shown]
	s_and_saveexec_b32 s5, s4
	s_cbranch_execz .LBB2_286
; %bb.279:
	v_mov_b32_e32 v6, 0
	v_mov_b32_e32 v12, s8
	;; [unrolled: 1-line block ×3, first 2 shown]
	s_mov_b32 s10, exec_lo
	s_clause 0x1
	global_load_dwordx2 v[14:15], v6, s[6:7] offset:32 glc dlc
	global_load_dwordx2 v[2:3], v6, s[6:7] offset:40
	s_waitcnt vmcnt(0)
	v_and_b32_e32 v3, s9, v3
	v_and_b32_e32 v2, s8, v2
	v_mul_lo_u32 v3, v3, 24
	v_mul_hi_u32 v4, v2, 24
	v_mul_lo_u32 v2, v2, 24
	v_add_nc_u32_e32 v3, v4, v3
	v_add_co_u32 v4, vcc_lo, v0, v2
	v_add_co_ci_u32_e64 v5, null, v1, v3, vcc_lo
	global_store_dwordx2 v[4:5], v[14:15], off
	s_waitcnt_vscnt null, 0x0
	global_atomic_cmpswap_x2 v[2:3], v6, v[12:15], s[6:7] offset:32 glc
	s_waitcnt vmcnt(0)
	v_cmpx_ne_u64_e64 v[2:3], v[14:15]
	s_cbranch_execz .LBB2_282
; %bb.280:
	s_mov_b32 s11, 0
.LBB2_281:                              ; =>This Inner Loop Header: Depth=1
	v_mov_b32_e32 v0, s8
	v_mov_b32_e32 v1, s9
	s_sleep 1
	global_store_dwordx2 v[4:5], v[2:3], off
	s_waitcnt_vscnt null, 0x0
	global_atomic_cmpswap_x2 v[0:1], v6, v[0:3], s[6:7] offset:32 glc
	s_waitcnt vmcnt(0)
	v_cmp_eq_u64_e32 vcc_lo, v[0:1], v[2:3]
	v_mov_b32_e32 v3, v1
	v_mov_b32_e32 v2, v0
	s_or_b32 s11, vcc_lo, s11
	s_andn2_b32 exec_lo, exec_lo, s11
	s_cbranch_execnz .LBB2_281
.LBB2_282:
	s_or_b32 exec_lo, exec_lo, s10
	v_mov_b32_e32 v3, 0
	s_mov_b32 s11, exec_lo
	s_mov_b32 s10, exec_lo
	v_mbcnt_lo_u32_b32 v2, s11, 0
	global_load_dwordx2 v[0:1], v3, s[6:7] offset:16
	v_cmpx_eq_u32_e32 0, v2
	s_cbranch_execz .LBB2_284
; %bb.283:
	s_bcnt1_i32_b32 s11, s11
	v_mov_b32_e32 v2, s11
	s_waitcnt vmcnt(0)
	global_atomic_add_x2 v[0:1], v[2:3], off offset:8
.LBB2_284:
	s_or_b32 exec_lo, exec_lo, s10
	s_waitcnt vmcnt(0)
	global_load_dwordx2 v[2:3], v[0:1], off offset:16
	s_waitcnt vmcnt(0)
	v_cmp_eq_u64_e32 vcc_lo, 0, v[2:3]
	s_cbranch_vccnz .LBB2_286
; %bb.285:
	global_load_dword v0, v[0:1], off offset:24
	v_mov_b32_e32 v1, 0
	s_waitcnt vmcnt(0)
	v_readfirstlane_b32 s10, v0
	s_waitcnt_vscnt null, 0x0
	global_store_dwordx2 v[2:3], v[0:1], off
	s_and_b32 m0, s10, 0x7fffff
	s_sendmsg sendmsg(MSG_INTERRUPT)
.LBB2_286:
	s_or_b32 exec_lo, exec_lo, s5
	s_branch .LBB2_288
	.p2align	6
.LBB2_287:
	s_branch .LBB2_292
.LBB2_288:                              ; =>This Inner Loop Header: Depth=1
	v_mov_b32_e32 v0, 1
	s_and_saveexec_b32 s5, s4
	s_cbranch_execz .LBB2_290
; %bb.289:                              ;   in Loop: Header=BB2_288 Depth=1
	global_load_dword v0, v[8:9], off offset:20 glc dlc
	s_waitcnt vmcnt(0)
	buffer_gl1_inv
	buffer_gl0_inv
	v_and_b32_e32 v0, 1, v0
.LBB2_290:                              ;   in Loop: Header=BB2_288 Depth=1
	s_or_b32 exec_lo, exec_lo, s5
	v_readfirstlane_b32 s5, v0
	s_cmp_eq_u32 s5, 0
	s_cbranch_scc1 .LBB2_287
; %bb.291:                              ;   in Loop: Header=BB2_288 Depth=1
	s_sleep 1
	s_cbranch_execnz .LBB2_288
.LBB2_292:
	global_load_dwordx2 v[0:1], v[10:11], off
	s_and_saveexec_b32 s10, s4
	s_cbranch_execz .LBB2_296
; %bb.293:
	v_mov_b32_e32 v8, 0
	s_clause 0x2
	global_load_dwordx2 v[2:3], v8, s[6:7] offset:40
	global_load_dwordx2 v[11:12], v8, s[6:7] offset:24 glc dlc
	global_load_dwordx2 v[4:5], v8, s[6:7]
	s_waitcnt vmcnt(2)
	v_readfirstlane_b32 s12, v2
	v_readfirstlane_b32 s13, v3
	s_add_u32 s11, s12, 1
	s_addc_u32 s14, s13, 0
	s_add_u32 s4, s11, s8
	s_addc_u32 s5, s14, s9
	s_cmp_eq_u64 s[4:5], 0
	s_cselect_b32 s5, s14, s5
	s_cselect_b32 s4, s11, s4
	v_mov_b32_e32 v10, s5
	s_and_b64 s[8:9], s[4:5], s[12:13]
	v_mov_b32_e32 v9, s4
	s_mul_i32 s9, s9, 24
	s_mul_hi_u32 s11, s8, 24
	s_mul_i32 s8, s8, 24
	s_add_i32 s11, s11, s9
	s_waitcnt vmcnt(0)
	v_add_co_u32 v6, vcc_lo, v4, s8
	v_add_co_ci_u32_e64 v7, null, s11, v5, vcc_lo
	global_store_dwordx2 v[6:7], v[11:12], off
	s_waitcnt_vscnt null, 0x0
	global_atomic_cmpswap_x2 v[4:5], v8, v[9:12], s[6:7] offset:24 glc
	s_waitcnt vmcnt(0)
	v_cmp_ne_u64_e32 vcc_lo, v[4:5], v[11:12]
	s_and_b32 exec_lo, exec_lo, vcc_lo
	s_cbranch_execz .LBB2_296
; %bb.294:
	s_mov_b32 s8, 0
.LBB2_295:                              ; =>This Inner Loop Header: Depth=1
	v_mov_b32_e32 v2, s4
	v_mov_b32_e32 v3, s5
	s_sleep 1
	global_store_dwordx2 v[6:7], v[4:5], off
	s_waitcnt_vscnt null, 0x0
	global_atomic_cmpswap_x2 v[2:3], v8, v[2:5], s[6:7] offset:24 glc
	s_waitcnt vmcnt(0)
	v_cmp_eq_u64_e32 vcc_lo, v[2:3], v[4:5]
	v_mov_b32_e32 v5, v3
	v_mov_b32_e32 v4, v2
	s_or_b32 s8, vcc_lo, s8
	s_andn2_b32 exec_lo, exec_lo, s8
	s_cbranch_execnz .LBB2_295
.LBB2_296:
	s_or_b32 exec_lo, exec_lo, s10
	s_getpc_b64 s[8:9]
	s_add_u32 s8, s8, .str.28@rel32@lo+4
	s_addc_u32 s9, s9, .str.28@rel32@hi+12
	s_cmp_lg_u64 s[8:9], 0
	s_cbranch_scc0 .LBB2_375
; %bb.297:
	s_waitcnt vmcnt(0)
	v_and_b32_e32 v6, -3, v0
	v_mov_b32_e32 v7, v1
	v_mov_b32_e32 v3, 0
	;; [unrolled: 1-line block ×4, first 2 shown]
	s_mov_b64 s[10:11], 35
	s_branch .LBB2_299
.LBB2_298:                              ;   in Loop: Header=BB2_299 Depth=1
	s_or_b32 exec_lo, exec_lo, s16
	s_sub_u32 s10, s10, s12
	s_subb_u32 s11, s11, s13
	s_add_u32 s8, s8, s12
	s_addc_u32 s9, s9, s13
	s_cmp_lg_u64 s[10:11], 0
	s_cbranch_scc0 .LBB2_374
.LBB2_299:                              ; =>This Loop Header: Depth=1
                                        ;     Child Loop BB2_302 Depth 2
                                        ;     Child Loop BB2_309 Depth 2
	;; [unrolled: 1-line block ×11, first 2 shown]
	v_cmp_lt_u64_e64 s4, s[10:11], 56
	v_cmp_gt_u64_e64 s14, s[10:11], 7
	s_and_b32 s4, s4, exec_lo
	s_cselect_b32 s13, s11, 0
	s_cselect_b32 s12, s10, 56
	s_add_u32 s4, s8, 8
	s_addc_u32 s5, s9, 0
	s_and_b32 vcc_lo, exec_lo, s14
	s_cbranch_vccnz .LBB2_304
; %bb.300:                              ;   in Loop: Header=BB2_299 Depth=1
	s_waitcnt vmcnt(0)
	v_mov_b32_e32 v8, 0
	v_mov_b32_e32 v9, 0
	s_cmp_eq_u64 s[10:11], 0
	s_cbranch_scc1 .LBB2_303
; %bb.301:                              ;   in Loop: Header=BB2_299 Depth=1
	s_lshl_b64 s[4:5], s[12:13], 3
	s_mov_b64 s[14:15], 0
	s_mov_b64 s[16:17], s[8:9]
.LBB2_302:                              ;   Parent Loop BB2_299 Depth=1
                                        ; =>  This Inner Loop Header: Depth=2
	global_load_ubyte v2, v3, s[16:17]
	s_waitcnt vmcnt(0)
	v_and_b32_e32 v2, 0xffff, v2
	v_lshlrev_b64 v[10:11], s14, v[2:3]
	s_add_u32 s14, s14, 8
	s_addc_u32 s15, s15, 0
	s_add_u32 s16, s16, 1
	s_addc_u32 s17, s17, 0
	s_cmp_lg_u32 s4, s14
	v_or_b32_e32 v8, v10, v8
	v_or_b32_e32 v9, v11, v9
	s_cbranch_scc1 .LBB2_302
.LBB2_303:                              ;   in Loop: Header=BB2_299 Depth=1
	s_mov_b64 s[4:5], s[8:9]
	s_mov_b32 s18, 0
	s_cbranch_execz .LBB2_305
	s_branch .LBB2_306
.LBB2_304:                              ;   in Loop: Header=BB2_299 Depth=1
	s_mov_b32 s18, 0
.LBB2_305:                              ;   in Loop: Header=BB2_299 Depth=1
	global_load_dwordx2 v[8:9], v3, s[8:9]
	s_add_i32 s18, s12, -8
.LBB2_306:                              ;   in Loop: Header=BB2_299 Depth=1
	s_add_u32 s14, s4, 8
	s_addc_u32 s15, s5, 0
	s_cmp_gt_u32 s18, 7
	s_cbranch_scc1 .LBB2_311
; %bb.307:                              ;   in Loop: Header=BB2_299 Depth=1
	v_mov_b32_e32 v10, 0
	v_mov_b32_e32 v11, 0
	s_cmp_eq_u32 s18, 0
	s_cbranch_scc1 .LBB2_310
; %bb.308:                              ;   in Loop: Header=BB2_299 Depth=1
	s_mov_b64 s[14:15], 0
	s_mov_b64 s[16:17], 0
.LBB2_309:                              ;   Parent Loop BB2_299 Depth=1
                                        ; =>  This Inner Loop Header: Depth=2
	s_add_u32 s26, s4, s16
	s_addc_u32 s27, s5, s17
	s_add_u32 s16, s16, 1
	global_load_ubyte v2, v3, s[26:27]
	s_addc_u32 s17, s17, 0
	s_waitcnt vmcnt(0)
	v_and_b32_e32 v2, 0xffff, v2
	v_lshlrev_b64 v[12:13], s14, v[2:3]
	s_add_u32 s14, s14, 8
	s_addc_u32 s15, s15, 0
	s_cmp_lg_u32 s18, s16
	v_or_b32_e32 v10, v12, v10
	v_or_b32_e32 v11, v13, v11
	s_cbranch_scc1 .LBB2_309
.LBB2_310:                              ;   in Loop: Header=BB2_299 Depth=1
	s_mov_b64 s[14:15], s[4:5]
	s_mov_b32 s19, 0
	s_cbranch_execz .LBB2_312
	s_branch .LBB2_313
.LBB2_311:                              ;   in Loop: Header=BB2_299 Depth=1
                                        ; implicit-def: $vgpr10_vgpr11
	s_mov_b32 s19, 0
.LBB2_312:                              ;   in Loop: Header=BB2_299 Depth=1
	global_load_dwordx2 v[10:11], v3, s[4:5]
	s_add_i32 s19, s18, -8
.LBB2_313:                              ;   in Loop: Header=BB2_299 Depth=1
	s_add_u32 s4, s14, 8
	s_addc_u32 s5, s15, 0
	s_cmp_gt_u32 s19, 7
	s_cbranch_scc1 .LBB2_318
; %bb.314:                              ;   in Loop: Header=BB2_299 Depth=1
	v_mov_b32_e32 v12, 0
	v_mov_b32_e32 v13, 0
	s_cmp_eq_u32 s19, 0
	s_cbranch_scc1 .LBB2_317
; %bb.315:                              ;   in Loop: Header=BB2_299 Depth=1
	s_mov_b64 s[4:5], 0
	s_mov_b64 s[16:17], 0
.LBB2_316:                              ;   Parent Loop BB2_299 Depth=1
                                        ; =>  This Inner Loop Header: Depth=2
	s_add_u32 s26, s14, s16
	s_addc_u32 s27, s15, s17
	s_add_u32 s16, s16, 1
	global_load_ubyte v2, v3, s[26:27]
	s_addc_u32 s17, s17, 0
	s_waitcnt vmcnt(0)
	v_and_b32_e32 v2, 0xffff, v2
	v_lshlrev_b64 v[14:15], s4, v[2:3]
	s_add_u32 s4, s4, 8
	s_addc_u32 s5, s5, 0
	s_cmp_lg_u32 s19, s16
	v_or_b32_e32 v12, v14, v12
	v_or_b32_e32 v13, v15, v13
	s_cbranch_scc1 .LBB2_316
.LBB2_317:                              ;   in Loop: Header=BB2_299 Depth=1
	s_mov_b64 s[4:5], s[14:15]
	s_mov_b32 s18, 0
	s_cbranch_execz .LBB2_319
	s_branch .LBB2_320
.LBB2_318:                              ;   in Loop: Header=BB2_299 Depth=1
	s_mov_b32 s18, 0
.LBB2_319:                              ;   in Loop: Header=BB2_299 Depth=1
	global_load_dwordx2 v[12:13], v3, s[14:15]
	s_add_i32 s18, s19, -8
.LBB2_320:                              ;   in Loop: Header=BB2_299 Depth=1
	s_add_u32 s14, s4, 8
	s_addc_u32 s15, s5, 0
	s_cmp_gt_u32 s18, 7
	s_cbranch_scc1 .LBB2_325
; %bb.321:                              ;   in Loop: Header=BB2_299 Depth=1
	v_mov_b32_e32 v14, 0
	v_mov_b32_e32 v15, 0
	s_cmp_eq_u32 s18, 0
	s_cbranch_scc1 .LBB2_324
; %bb.322:                              ;   in Loop: Header=BB2_299 Depth=1
	s_mov_b64 s[14:15], 0
	s_mov_b64 s[16:17], 0
.LBB2_323:                              ;   Parent Loop BB2_299 Depth=1
                                        ; =>  This Inner Loop Header: Depth=2
	s_add_u32 s26, s4, s16
	s_addc_u32 s27, s5, s17
	s_add_u32 s16, s16, 1
	global_load_ubyte v2, v3, s[26:27]
	s_addc_u32 s17, s17, 0
	s_waitcnt vmcnt(0)
	v_and_b32_e32 v2, 0xffff, v2
	v_lshlrev_b64 v[16:17], s14, v[2:3]
	s_add_u32 s14, s14, 8
	s_addc_u32 s15, s15, 0
	s_cmp_lg_u32 s18, s16
	v_or_b32_e32 v14, v16, v14
	v_or_b32_e32 v15, v17, v15
	s_cbranch_scc1 .LBB2_323
.LBB2_324:                              ;   in Loop: Header=BB2_299 Depth=1
	s_mov_b64 s[14:15], s[4:5]
	s_mov_b32 s19, 0
	s_cbranch_execz .LBB2_326
	s_branch .LBB2_327
.LBB2_325:                              ;   in Loop: Header=BB2_299 Depth=1
                                        ; implicit-def: $vgpr14_vgpr15
	s_mov_b32 s19, 0
.LBB2_326:                              ;   in Loop: Header=BB2_299 Depth=1
	global_load_dwordx2 v[14:15], v3, s[4:5]
	s_add_i32 s19, s18, -8
.LBB2_327:                              ;   in Loop: Header=BB2_299 Depth=1
	s_add_u32 s4, s14, 8
	s_addc_u32 s5, s15, 0
	s_cmp_gt_u32 s19, 7
	s_cbranch_scc1 .LBB2_332
; %bb.328:                              ;   in Loop: Header=BB2_299 Depth=1
	v_mov_b32_e32 v16, 0
	v_mov_b32_e32 v17, 0
	s_cmp_eq_u32 s19, 0
	s_cbranch_scc1 .LBB2_331
; %bb.329:                              ;   in Loop: Header=BB2_299 Depth=1
	s_mov_b64 s[4:5], 0
	s_mov_b64 s[16:17], 0
.LBB2_330:                              ;   Parent Loop BB2_299 Depth=1
                                        ; =>  This Inner Loop Header: Depth=2
	s_add_u32 s26, s14, s16
	s_addc_u32 s27, s15, s17
	s_add_u32 s16, s16, 1
	global_load_ubyte v2, v3, s[26:27]
	s_addc_u32 s17, s17, 0
	s_waitcnt vmcnt(0)
	v_and_b32_e32 v2, 0xffff, v2
	v_lshlrev_b64 v[18:19], s4, v[2:3]
	s_add_u32 s4, s4, 8
	s_addc_u32 s5, s5, 0
	s_cmp_lg_u32 s19, s16
	v_or_b32_e32 v16, v18, v16
	v_or_b32_e32 v17, v19, v17
	s_cbranch_scc1 .LBB2_330
.LBB2_331:                              ;   in Loop: Header=BB2_299 Depth=1
	s_mov_b64 s[4:5], s[14:15]
	s_mov_b32 s18, 0
	s_cbranch_execz .LBB2_333
	s_branch .LBB2_334
.LBB2_332:                              ;   in Loop: Header=BB2_299 Depth=1
	s_mov_b32 s18, 0
.LBB2_333:                              ;   in Loop: Header=BB2_299 Depth=1
	global_load_dwordx2 v[16:17], v3, s[14:15]
	s_add_i32 s18, s19, -8
.LBB2_334:                              ;   in Loop: Header=BB2_299 Depth=1
	s_add_u32 s14, s4, 8
	s_addc_u32 s15, s5, 0
	s_cmp_gt_u32 s18, 7
	s_cbranch_scc1 .LBB2_339
; %bb.335:                              ;   in Loop: Header=BB2_299 Depth=1
	v_mov_b32_e32 v18, 0
	v_mov_b32_e32 v19, 0
	s_cmp_eq_u32 s18, 0
	s_cbranch_scc1 .LBB2_338
; %bb.336:                              ;   in Loop: Header=BB2_299 Depth=1
	s_mov_b64 s[14:15], 0
	s_mov_b64 s[16:17], 0
.LBB2_337:                              ;   Parent Loop BB2_299 Depth=1
                                        ; =>  This Inner Loop Header: Depth=2
	s_add_u32 s26, s4, s16
	s_addc_u32 s27, s5, s17
	s_add_u32 s16, s16, 1
	global_load_ubyte v2, v3, s[26:27]
	s_addc_u32 s17, s17, 0
	s_waitcnt vmcnt(0)
	v_and_b32_e32 v2, 0xffff, v2
	v_lshlrev_b64 v[20:21], s14, v[2:3]
	s_add_u32 s14, s14, 8
	s_addc_u32 s15, s15, 0
	s_cmp_lg_u32 s18, s16
	v_or_b32_e32 v18, v20, v18
	v_or_b32_e32 v19, v21, v19
	s_cbranch_scc1 .LBB2_337
.LBB2_338:                              ;   in Loop: Header=BB2_299 Depth=1
	s_mov_b64 s[14:15], s[4:5]
	s_mov_b32 s19, 0
	s_cbranch_execz .LBB2_340
	s_branch .LBB2_341
.LBB2_339:                              ;   in Loop: Header=BB2_299 Depth=1
                                        ; implicit-def: $vgpr18_vgpr19
	s_mov_b32 s19, 0
.LBB2_340:                              ;   in Loop: Header=BB2_299 Depth=1
	global_load_dwordx2 v[18:19], v3, s[4:5]
	s_add_i32 s19, s18, -8
.LBB2_341:                              ;   in Loop: Header=BB2_299 Depth=1
	s_cmp_gt_u32 s19, 7
	s_cbranch_scc1 .LBB2_346
; %bb.342:                              ;   in Loop: Header=BB2_299 Depth=1
	v_mov_b32_e32 v20, 0
	v_mov_b32_e32 v21, 0
	s_cmp_eq_u32 s19, 0
	s_cbranch_scc1 .LBB2_345
; %bb.343:                              ;   in Loop: Header=BB2_299 Depth=1
	s_mov_b64 s[4:5], 0
	s_mov_b64 s[16:17], s[14:15]
.LBB2_344:                              ;   Parent Loop BB2_299 Depth=1
                                        ; =>  This Inner Loop Header: Depth=2
	global_load_ubyte v2, v3, s[16:17]
	s_add_i32 s19, s19, -1
	s_waitcnt vmcnt(0)
	v_and_b32_e32 v2, 0xffff, v2
	v_lshlrev_b64 v[22:23], s4, v[2:3]
	s_add_u32 s4, s4, 8
	s_addc_u32 s5, s5, 0
	s_add_u32 s16, s16, 1
	s_addc_u32 s17, s17, 0
	s_cmp_lg_u32 s19, 0
	v_or_b32_e32 v20, v22, v20
	v_or_b32_e32 v21, v23, v21
	s_cbranch_scc1 .LBB2_344
.LBB2_345:                              ;   in Loop: Header=BB2_299 Depth=1
	s_cbranch_execz .LBB2_347
	s_branch .LBB2_348
.LBB2_346:                              ;   in Loop: Header=BB2_299 Depth=1
.LBB2_347:                              ;   in Loop: Header=BB2_299 Depth=1
	global_load_dwordx2 v[20:21], v3, s[14:15]
.LBB2_348:                              ;   in Loop: Header=BB2_299 Depth=1
	v_readfirstlane_b32 s4, v29
	v_mov_b32_e32 v26, 0
	v_mov_b32_e32 v27, 0
	v_cmp_eq_u32_e64 s4, s4, v29
	s_and_saveexec_b32 s5, s4
	s_cbranch_execz .LBB2_354
; %bb.349:                              ;   in Loop: Header=BB2_299 Depth=1
	global_load_dwordx2 v[24:25], v3, s[6:7] offset:24 glc dlc
	s_waitcnt vmcnt(0)
	buffer_gl1_inv
	buffer_gl0_inv
	s_clause 0x1
	global_load_dwordx2 v[22:23], v3, s[6:7] offset:40
	global_load_dwordx2 v[26:27], v3, s[6:7]
	s_mov_b32 s14, exec_lo
	s_waitcnt vmcnt(1)
	v_and_b32_e32 v2, v23, v25
	v_and_b32_e32 v22, v22, v24
	v_mul_lo_u32 v2, v2, 24
	v_mul_hi_u32 v23, v22, 24
	v_mul_lo_u32 v22, v22, 24
	v_add_nc_u32_e32 v2, v23, v2
	s_waitcnt vmcnt(0)
	v_add_co_u32 v22, vcc_lo, v26, v22
	v_add_co_ci_u32_e64 v23, null, v27, v2, vcc_lo
	global_load_dwordx2 v[22:23], v[22:23], off glc dlc
	s_waitcnt vmcnt(0)
	global_atomic_cmpswap_x2 v[26:27], v3, v[22:25], s[6:7] offset:24 glc
	s_waitcnt vmcnt(0)
	buffer_gl1_inv
	buffer_gl0_inv
	v_cmpx_ne_u64_e64 v[26:27], v[24:25]
	s_cbranch_execz .LBB2_353
; %bb.350:                              ;   in Loop: Header=BB2_299 Depth=1
	s_mov_b32 s15, 0
	.p2align	6
.LBB2_351:                              ;   Parent Loop BB2_299 Depth=1
                                        ; =>  This Inner Loop Header: Depth=2
	s_sleep 1
	s_clause 0x1
	global_load_dwordx2 v[22:23], v3, s[6:7] offset:40
	global_load_dwordx2 v[30:31], v3, s[6:7]
	v_mov_b32_e32 v24, v26
	v_mov_b32_e32 v25, v27
	s_waitcnt vmcnt(1)
	v_and_b32_e32 v2, v22, v24
	v_and_b32_e32 v22, v23, v25
	s_waitcnt vmcnt(0)
	v_mad_u64_u32 v[26:27], null, v2, 24, v[30:31]
	v_mov_b32_e32 v2, v27
	v_mad_u64_u32 v[22:23], null, v22, 24, v[2:3]
	v_mov_b32_e32 v27, v22
	global_load_dwordx2 v[22:23], v[26:27], off glc dlc
	s_waitcnt vmcnt(0)
	global_atomic_cmpswap_x2 v[26:27], v3, v[22:25], s[6:7] offset:24 glc
	s_waitcnt vmcnt(0)
	buffer_gl1_inv
	buffer_gl0_inv
	v_cmp_eq_u64_e32 vcc_lo, v[26:27], v[24:25]
	s_or_b32 s15, vcc_lo, s15
	s_andn2_b32 exec_lo, exec_lo, s15
	s_cbranch_execnz .LBB2_351
; %bb.352:                              ;   in Loop: Header=BB2_299 Depth=1
	s_or_b32 exec_lo, exec_lo, s15
.LBB2_353:                              ;   in Loop: Header=BB2_299 Depth=1
	s_or_b32 exec_lo, exec_lo, s14
.LBB2_354:                              ;   in Loop: Header=BB2_299 Depth=1
	s_or_b32 exec_lo, exec_lo, s5
	s_clause 0x1
	global_load_dwordx2 v[30:31], v3, s[6:7] offset:40
	global_load_dwordx4 v[22:25], v3, s[6:7]
	v_readfirstlane_b32 s15, v27
	v_readfirstlane_b32 s14, v26
	s_mov_b32 s5, exec_lo
	s_waitcnt vmcnt(1)
	v_readfirstlane_b32 s16, v30
	v_readfirstlane_b32 s17, v31
	s_and_b64 s[16:17], s[16:17], s[14:15]
	s_mul_i32 s18, s17, 24
	s_mul_hi_u32 s19, s16, 24
	s_mul_i32 s20, s16, 24
	s_add_i32 s19, s19, s18
	s_waitcnt vmcnt(0)
	v_add_co_u32 v26, vcc_lo, v22, s20
	v_add_co_ci_u32_e64 v27, null, s19, v23, vcc_lo
	s_and_saveexec_b32 s18, s4
	s_cbranch_execz .LBB2_356
; %bb.355:                              ;   in Loop: Header=BB2_299 Depth=1
	v_mov_b32_e32 v2, s5
	global_store_dwordx4 v[26:27], v[2:5], off offset:8
.LBB2_356:                              ;   in Loop: Header=BB2_299 Depth=1
	s_or_b32 exec_lo, exec_lo, s18
	v_cmp_gt_u64_e64 s5, s[10:11], 56
	s_lshl_b64 s[16:17], s[16:17], 12
	v_and_b32_e32 v2, 0xffffff1f, v6
	v_add_co_u32 v24, vcc_lo, v24, s16
	v_add_co_ci_u32_e64 v25, null, s17, v25, vcc_lo
	s_and_b32 s5, s5, exec_lo
	s_cselect_b32 s5, 0, 2
	s_lshl_b32 s18, s12, 2
	v_or_b32_e32 v2, s5, v2
	v_readfirstlane_b32 s16, v24
	v_readfirstlane_b32 s17, v25
	s_add_i32 s18, s18, 28
	v_and_or_b32 v6, 0x1e0, s18, v2
	global_store_dwordx4 v28, v[10:13], s[16:17] offset:16
	global_store_dwordx4 v28, v[14:17], s[16:17] offset:32
	global_store_dwordx4 v28, v[6:9], s[16:17]
	global_store_dwordx4 v28, v[18:21], s[16:17] offset:48
	s_and_saveexec_b32 s5, s4
	s_cbranch_execz .LBB2_364
; %bb.357:                              ;   in Loop: Header=BB2_299 Depth=1
	s_clause 0x1
	global_load_dwordx2 v[14:15], v3, s[6:7] offset:32 glc dlc
	global_load_dwordx2 v[6:7], v3, s[6:7] offset:40
	v_mov_b32_e32 v12, s14
	v_mov_b32_e32 v13, s15
	s_waitcnt vmcnt(0)
	v_readfirstlane_b32 s16, v6
	v_readfirstlane_b32 s17, v7
	s_and_b64 s[16:17], s[16:17], s[14:15]
	s_mul_i32 s17, s17, 24
	s_mul_hi_u32 s18, s16, 24
	s_mul_i32 s16, s16, 24
	s_add_i32 s18, s18, s17
	v_add_co_u32 v10, vcc_lo, v22, s16
	v_add_co_ci_u32_e64 v11, null, s18, v23, vcc_lo
	s_mov_b32 s16, exec_lo
	global_store_dwordx2 v[10:11], v[14:15], off
	s_waitcnt_vscnt null, 0x0
	global_atomic_cmpswap_x2 v[8:9], v3, v[12:15], s[6:7] offset:32 glc
	s_waitcnt vmcnt(0)
	v_cmpx_ne_u64_e64 v[8:9], v[14:15]
	s_cbranch_execz .LBB2_360
; %bb.358:                              ;   in Loop: Header=BB2_299 Depth=1
	s_mov_b32 s17, 0
.LBB2_359:                              ;   Parent Loop BB2_299 Depth=1
                                        ; =>  This Inner Loop Header: Depth=2
	v_mov_b32_e32 v6, s14
	v_mov_b32_e32 v7, s15
	s_sleep 1
	global_store_dwordx2 v[10:11], v[8:9], off
	s_waitcnt_vscnt null, 0x0
	global_atomic_cmpswap_x2 v[6:7], v3, v[6:9], s[6:7] offset:32 glc
	s_waitcnt vmcnt(0)
	v_cmp_eq_u64_e32 vcc_lo, v[6:7], v[8:9]
	v_mov_b32_e32 v9, v7
	v_mov_b32_e32 v8, v6
	s_or_b32 s17, vcc_lo, s17
	s_andn2_b32 exec_lo, exec_lo, s17
	s_cbranch_execnz .LBB2_359
.LBB2_360:                              ;   in Loop: Header=BB2_299 Depth=1
	s_or_b32 exec_lo, exec_lo, s16
	global_load_dwordx2 v[6:7], v3, s[6:7] offset:16
	s_mov_b32 s17, exec_lo
	s_mov_b32 s16, exec_lo
	v_mbcnt_lo_u32_b32 v2, s17, 0
	v_cmpx_eq_u32_e32 0, v2
	s_cbranch_execz .LBB2_362
; %bb.361:                              ;   in Loop: Header=BB2_299 Depth=1
	s_bcnt1_i32_b32 s17, s17
	v_mov_b32_e32 v2, s17
	s_waitcnt vmcnt(0)
	global_atomic_add_x2 v[6:7], v[2:3], off offset:8
.LBB2_362:                              ;   in Loop: Header=BB2_299 Depth=1
	s_or_b32 exec_lo, exec_lo, s16
	s_waitcnt vmcnt(0)
	global_load_dwordx2 v[8:9], v[6:7], off offset:16
	s_waitcnt vmcnt(0)
	v_cmp_eq_u64_e32 vcc_lo, 0, v[8:9]
	s_cbranch_vccnz .LBB2_364
; %bb.363:                              ;   in Loop: Header=BB2_299 Depth=1
	global_load_dword v2, v[6:7], off offset:24
	s_waitcnt vmcnt(0)
	v_readfirstlane_b32 s16, v2
	s_waitcnt_vscnt null, 0x0
	global_store_dwordx2 v[8:9], v[2:3], off
	s_and_b32 m0, s16, 0x7fffff
	s_sendmsg sendmsg(MSG_INTERRUPT)
.LBB2_364:                              ;   in Loop: Header=BB2_299 Depth=1
	s_or_b32 exec_lo, exec_lo, s5
	v_add_co_u32 v6, vcc_lo, v24, v28
	v_add_co_ci_u32_e64 v7, null, 0, v25, vcc_lo
	s_branch .LBB2_366
	.p2align	6
.LBB2_365:                              ;   in Loop: Header=BB2_299 Depth=1
	s_branch .LBB2_370
.LBB2_366:                              ;   Parent Loop BB2_299 Depth=1
                                        ; =>  This Inner Loop Header: Depth=2
	v_mov_b32_e32 v2, 1
	s_and_saveexec_b32 s5, s4
	s_cbranch_execz .LBB2_368
; %bb.367:                              ;   in Loop: Header=BB2_366 Depth=2
	global_load_dword v2, v[26:27], off offset:20 glc dlc
	s_waitcnt vmcnt(0)
	buffer_gl1_inv
	buffer_gl0_inv
	v_and_b32_e32 v2, 1, v2
.LBB2_368:                              ;   in Loop: Header=BB2_366 Depth=2
	s_or_b32 exec_lo, exec_lo, s5
	v_readfirstlane_b32 s5, v2
	s_cmp_eq_u32 s5, 0
	s_cbranch_scc1 .LBB2_365
; %bb.369:                              ;   in Loop: Header=BB2_366 Depth=2
	s_sleep 1
	s_cbranch_execnz .LBB2_366
.LBB2_370:                              ;   in Loop: Header=BB2_299 Depth=1
	global_load_dwordx4 v[6:9], v[6:7], off
	s_and_saveexec_b32 s16, s4
	s_cbranch_execz .LBB2_298
; %bb.371:                              ;   in Loop: Header=BB2_299 Depth=1
	s_clause 0x2
	global_load_dwordx2 v[8:9], v3, s[6:7] offset:40
	global_load_dwordx2 v[16:17], v3, s[6:7] offset:24 glc dlc
	global_load_dwordx2 v[10:11], v3, s[6:7]
	s_waitcnt vmcnt(2)
	v_readfirstlane_b32 s18, v8
	v_readfirstlane_b32 s19, v9
	s_add_u32 s17, s18, 1
	s_addc_u32 s20, s19, 0
	s_add_u32 s4, s17, s14
	s_addc_u32 s5, s20, s15
	s_cmp_eq_u64 s[4:5], 0
	s_cselect_b32 s5, s20, s5
	s_cselect_b32 s4, s17, s4
	v_mov_b32_e32 v15, s5
	s_and_b64 s[14:15], s[4:5], s[18:19]
	v_mov_b32_e32 v14, s4
	s_mul_i32 s15, s15, 24
	s_mul_hi_u32 s17, s14, 24
	s_mul_i32 s14, s14, 24
	s_add_i32 s17, s17, s15
	s_waitcnt vmcnt(0)
	v_add_co_u32 v12, vcc_lo, v10, s14
	v_add_co_ci_u32_e64 v13, null, s17, v11, vcc_lo
	global_store_dwordx2 v[12:13], v[16:17], off
	s_waitcnt_vscnt null, 0x0
	global_atomic_cmpswap_x2 v[10:11], v3, v[14:17], s[6:7] offset:24 glc
	s_waitcnt vmcnt(0)
	v_cmp_ne_u64_e32 vcc_lo, v[10:11], v[16:17]
	s_and_b32 exec_lo, exec_lo, vcc_lo
	s_cbranch_execz .LBB2_298
; %bb.372:                              ;   in Loop: Header=BB2_299 Depth=1
	s_mov_b32 s14, 0
.LBB2_373:                              ;   Parent Loop BB2_299 Depth=1
                                        ; =>  This Inner Loop Header: Depth=2
	v_mov_b32_e32 v8, s4
	v_mov_b32_e32 v9, s5
	s_sleep 1
	global_store_dwordx2 v[12:13], v[10:11], off
	s_waitcnt_vscnt null, 0x0
	global_atomic_cmpswap_x2 v[8:9], v3, v[8:11], s[6:7] offset:24 glc
	s_waitcnt vmcnt(0)
	v_cmp_eq_u64_e32 vcc_lo, v[8:9], v[10:11]
	v_mov_b32_e32 v11, v9
	v_mov_b32_e32 v10, v8
	s_or_b32 s14, vcc_lo, s14
	s_andn2_b32 exec_lo, exec_lo, s14
	s_cbranch_execnz .LBB2_373
	s_branch .LBB2_298
.LBB2_374:
	s_branch .LBB2_403
.LBB2_375:
	s_cbranch_execz .LBB2_403
; %bb.376:
	v_readfirstlane_b32 s4, v29
	s_waitcnt vmcnt(0)
	v_mov_b32_e32 v8, 0
	v_mov_b32_e32 v9, 0
	v_cmp_eq_u32_e64 s4, s4, v29
	s_and_saveexec_b32 s5, s4
	s_cbranch_execz .LBB2_382
; %bb.377:
	v_mov_b32_e32 v2, 0
	s_mov_b32 s8, exec_lo
	global_load_dwordx2 v[5:6], v2, s[6:7] offset:24 glc dlc
	s_waitcnt vmcnt(0)
	buffer_gl1_inv
	buffer_gl0_inv
	s_clause 0x1
	global_load_dwordx2 v[3:4], v2, s[6:7] offset:40
	global_load_dwordx2 v[7:8], v2, s[6:7]
	s_waitcnt vmcnt(1)
	v_and_b32_e32 v4, v4, v6
	v_and_b32_e32 v3, v3, v5
	v_mul_lo_u32 v4, v4, 24
	v_mul_hi_u32 v9, v3, 24
	v_mul_lo_u32 v3, v3, 24
	v_add_nc_u32_e32 v4, v9, v4
	s_waitcnt vmcnt(0)
	v_add_co_u32 v3, vcc_lo, v7, v3
	v_add_co_ci_u32_e64 v4, null, v8, v4, vcc_lo
	global_load_dwordx2 v[3:4], v[3:4], off glc dlc
	s_waitcnt vmcnt(0)
	global_atomic_cmpswap_x2 v[8:9], v2, v[3:6], s[6:7] offset:24 glc
	s_waitcnt vmcnt(0)
	buffer_gl1_inv
	buffer_gl0_inv
	v_cmpx_ne_u64_e64 v[8:9], v[5:6]
	s_cbranch_execz .LBB2_381
; %bb.378:
	s_mov_b32 s9, 0
	.p2align	6
.LBB2_379:                              ; =>This Inner Loop Header: Depth=1
	s_sleep 1
	s_clause 0x1
	global_load_dwordx2 v[3:4], v2, s[6:7] offset:40
	global_load_dwordx2 v[10:11], v2, s[6:7]
	v_mov_b32_e32 v5, v8
	v_mov_b32_e32 v6, v9
	s_waitcnt vmcnt(1)
	v_and_b32_e32 v3, v3, v5
	v_and_b32_e32 v4, v4, v6
	s_waitcnt vmcnt(0)
	v_mad_u64_u32 v[7:8], null, v3, 24, v[10:11]
	v_mov_b32_e32 v3, v8
	v_mad_u64_u32 v[3:4], null, v4, 24, v[3:4]
	v_mov_b32_e32 v8, v3
	global_load_dwordx2 v[3:4], v[7:8], off glc dlc
	s_waitcnt vmcnt(0)
	global_atomic_cmpswap_x2 v[8:9], v2, v[3:6], s[6:7] offset:24 glc
	s_waitcnt vmcnt(0)
	buffer_gl1_inv
	buffer_gl0_inv
	v_cmp_eq_u64_e32 vcc_lo, v[8:9], v[5:6]
	s_or_b32 s9, vcc_lo, s9
	s_andn2_b32 exec_lo, exec_lo, s9
	s_cbranch_execnz .LBB2_379
; %bb.380:
	s_or_b32 exec_lo, exec_lo, s9
.LBB2_381:
	s_or_b32 exec_lo, exec_lo, s8
.LBB2_382:
	s_or_b32 exec_lo, exec_lo, s5
	v_mov_b32_e32 v2, 0
	v_readfirstlane_b32 s9, v9
	v_readfirstlane_b32 s8, v8
	s_mov_b32 s5, exec_lo
	s_clause 0x1
	global_load_dwordx2 v[10:11], v2, s[6:7] offset:40
	global_load_dwordx4 v[4:7], v2, s[6:7]
	s_waitcnt vmcnt(1)
	v_readfirstlane_b32 s10, v10
	v_readfirstlane_b32 s11, v11
	s_and_b64 s[10:11], s[10:11], s[8:9]
	s_mul_i32 s12, s11, 24
	s_mul_hi_u32 s13, s10, 24
	s_mul_i32 s14, s10, 24
	s_add_i32 s13, s13, s12
	s_waitcnt vmcnt(0)
	v_add_co_u32 v8, vcc_lo, v4, s14
	v_add_co_ci_u32_e64 v9, null, s13, v5, vcc_lo
	s_and_saveexec_b32 s12, s4
	s_cbranch_execz .LBB2_384
; %bb.383:
	v_mov_b32_e32 v10, s5
	v_mov_b32_e32 v11, v2
	;; [unrolled: 1-line block ×4, first 2 shown]
	global_store_dwordx4 v[8:9], v[10:13], off offset:8
.LBB2_384:
	s_or_b32 exec_lo, exec_lo, s12
	s_lshl_b64 s[10:11], s[10:11], 12
	s_mov_b32 s12, 0
	v_add_co_u32 v6, vcc_lo, v6, s10
	v_add_co_ci_u32_e64 v7, null, s11, v7, vcc_lo
	s_mov_b32 s13, s12
	s_mov_b32 s14, s12
	;; [unrolled: 1-line block ×3, first 2 shown]
	v_and_or_b32 v0, 0xffffff1d, v0, 34
	v_mov_b32_e32 v3, v2
	v_readfirstlane_b32 s10, v6
	v_readfirstlane_b32 s11, v7
	v_mov_b32_e32 v10, s12
	v_mov_b32_e32 v11, s13
	;; [unrolled: 1-line block ×4, first 2 shown]
	global_store_dwordx4 v28, v[0:3], s[10:11]
	global_store_dwordx4 v28, v[10:13], s[10:11] offset:16
	global_store_dwordx4 v28, v[10:13], s[10:11] offset:32
	global_store_dwordx4 v28, v[10:13], s[10:11] offset:48
	s_and_saveexec_b32 s5, s4
	s_cbranch_execz .LBB2_392
; %bb.385:
	v_mov_b32_e32 v6, 0
	v_mov_b32_e32 v10, s8
	;; [unrolled: 1-line block ×3, first 2 shown]
	s_clause 0x1
	global_load_dwordx2 v[12:13], v6, s[6:7] offset:32 glc dlc
	global_load_dwordx2 v[0:1], v6, s[6:7] offset:40
	s_waitcnt vmcnt(0)
	v_readfirstlane_b32 s10, v0
	v_readfirstlane_b32 s11, v1
	s_and_b64 s[10:11], s[10:11], s[8:9]
	s_mul_i32 s11, s11, 24
	s_mul_hi_u32 s12, s10, 24
	s_mul_i32 s10, s10, 24
	s_add_i32 s12, s12, s11
	v_add_co_u32 v4, vcc_lo, v4, s10
	v_add_co_ci_u32_e64 v5, null, s12, v5, vcc_lo
	s_mov_b32 s10, exec_lo
	global_store_dwordx2 v[4:5], v[12:13], off
	s_waitcnt_vscnt null, 0x0
	global_atomic_cmpswap_x2 v[2:3], v6, v[10:13], s[6:7] offset:32 glc
	s_waitcnt vmcnt(0)
	v_cmpx_ne_u64_e64 v[2:3], v[12:13]
	s_cbranch_execz .LBB2_388
; %bb.386:
	s_mov_b32 s11, 0
.LBB2_387:                              ; =>This Inner Loop Header: Depth=1
	v_mov_b32_e32 v0, s8
	v_mov_b32_e32 v1, s9
	s_sleep 1
	global_store_dwordx2 v[4:5], v[2:3], off
	s_waitcnt_vscnt null, 0x0
	global_atomic_cmpswap_x2 v[0:1], v6, v[0:3], s[6:7] offset:32 glc
	s_waitcnt vmcnt(0)
	v_cmp_eq_u64_e32 vcc_lo, v[0:1], v[2:3]
	v_mov_b32_e32 v3, v1
	v_mov_b32_e32 v2, v0
	s_or_b32 s11, vcc_lo, s11
	s_andn2_b32 exec_lo, exec_lo, s11
	s_cbranch_execnz .LBB2_387
.LBB2_388:
	s_or_b32 exec_lo, exec_lo, s10
	v_mov_b32_e32 v3, 0
	s_mov_b32 s11, exec_lo
	s_mov_b32 s10, exec_lo
	v_mbcnt_lo_u32_b32 v2, s11, 0
	global_load_dwordx2 v[0:1], v3, s[6:7] offset:16
	v_cmpx_eq_u32_e32 0, v2
	s_cbranch_execz .LBB2_390
; %bb.389:
	s_bcnt1_i32_b32 s11, s11
	v_mov_b32_e32 v2, s11
	s_waitcnt vmcnt(0)
	global_atomic_add_x2 v[0:1], v[2:3], off offset:8
.LBB2_390:
	s_or_b32 exec_lo, exec_lo, s10
	s_waitcnt vmcnt(0)
	global_load_dwordx2 v[2:3], v[0:1], off offset:16
	s_waitcnt vmcnt(0)
	v_cmp_eq_u64_e32 vcc_lo, 0, v[2:3]
	s_cbranch_vccnz .LBB2_392
; %bb.391:
	global_load_dword v0, v[0:1], off offset:24
	v_mov_b32_e32 v1, 0
	s_waitcnt vmcnt(0)
	v_readfirstlane_b32 s10, v0
	s_waitcnt_vscnt null, 0x0
	global_store_dwordx2 v[2:3], v[0:1], off
	s_and_b32 m0, s10, 0x7fffff
	s_sendmsg sendmsg(MSG_INTERRUPT)
.LBB2_392:
	s_or_b32 exec_lo, exec_lo, s5
	s_branch .LBB2_394
	.p2align	6
.LBB2_393:
	s_branch .LBB2_398
.LBB2_394:                              ; =>This Inner Loop Header: Depth=1
	v_mov_b32_e32 v0, 1
	s_and_saveexec_b32 s5, s4
	s_cbranch_execz .LBB2_396
; %bb.395:                              ;   in Loop: Header=BB2_394 Depth=1
	global_load_dword v0, v[8:9], off offset:20 glc dlc
	s_waitcnt vmcnt(0)
	buffer_gl1_inv
	buffer_gl0_inv
	v_and_b32_e32 v0, 1, v0
.LBB2_396:                              ;   in Loop: Header=BB2_394 Depth=1
	s_or_b32 exec_lo, exec_lo, s5
	v_readfirstlane_b32 s5, v0
	s_cmp_eq_u32 s5, 0
	s_cbranch_scc1 .LBB2_393
; %bb.397:                              ;   in Loop: Header=BB2_394 Depth=1
	s_sleep 1
	s_cbranch_execnz .LBB2_394
.LBB2_398:
	s_and_saveexec_b32 s10, s4
	s_cbranch_execz .LBB2_402
; %bb.399:
	v_mov_b32_e32 v6, 0
	s_clause 0x2
	global_load_dwordx2 v[0:1], v6, s[6:7] offset:40
	global_load_dwordx2 v[9:10], v6, s[6:7] offset:24 glc dlc
	global_load_dwordx2 v[2:3], v6, s[6:7]
	s_waitcnt vmcnt(2)
	v_readfirstlane_b32 s12, v0
	v_readfirstlane_b32 s13, v1
	s_add_u32 s11, s12, 1
	s_addc_u32 s14, s13, 0
	s_add_u32 s4, s11, s8
	s_addc_u32 s5, s14, s9
	s_cmp_eq_u64 s[4:5], 0
	s_cselect_b32 s5, s14, s5
	s_cselect_b32 s4, s11, s4
	v_mov_b32_e32 v8, s5
	s_and_b64 s[8:9], s[4:5], s[12:13]
	v_mov_b32_e32 v7, s4
	s_mul_i32 s9, s9, 24
	s_mul_hi_u32 s11, s8, 24
	s_mul_i32 s8, s8, 24
	s_add_i32 s11, s11, s9
	s_waitcnt vmcnt(0)
	v_add_co_u32 v4, vcc_lo, v2, s8
	v_add_co_ci_u32_e64 v5, null, s11, v3, vcc_lo
	global_store_dwordx2 v[4:5], v[9:10], off
	s_waitcnt_vscnt null, 0x0
	global_atomic_cmpswap_x2 v[2:3], v6, v[7:10], s[6:7] offset:24 glc
	s_waitcnt vmcnt(0)
	v_cmp_ne_u64_e32 vcc_lo, v[2:3], v[9:10]
	s_and_b32 exec_lo, exec_lo, vcc_lo
	s_cbranch_execz .LBB2_402
; %bb.400:
	s_mov_b32 s8, 0
.LBB2_401:                              ; =>This Inner Loop Header: Depth=1
	v_mov_b32_e32 v0, s4
	v_mov_b32_e32 v1, s5
	s_sleep 1
	global_store_dwordx2 v[4:5], v[2:3], off
	s_waitcnt_vscnt null, 0x0
	global_atomic_cmpswap_x2 v[0:1], v6, v[0:3], s[6:7] offset:24 glc
	s_waitcnt vmcnt(0)
	v_cmp_eq_u64_e32 vcc_lo, v[0:1], v[2:3]
	v_mov_b32_e32 v3, v1
	v_mov_b32_e32 v2, v0
	s_or_b32 s8, vcc_lo, s8
	s_andn2_b32 exec_lo, exec_lo, s8
	s_cbranch_execnz .LBB2_401
.LBB2_402:
	s_or_b32 exec_lo, exec_lo, s10
.LBB2_403:
	s_getpc_b64 s[4:5]
	s_add_u32 s4, s4, .str.29@rel32@lo+4
	s_addc_u32 s5, s5, .str.29@rel32@hi+12
	s_getpc_b64 s[6:7]
	s_add_u32 s6, s6, .str.19@rel32@lo+4
	s_addc_u32 s7, s7, .str.19@rel32@hi+12
	s_getpc_b64 s[8:9]
	s_add_u32 s8, s8, __PRETTY_FUNCTION__._ZN7VecsMemIjLi8192EE5fetchEi@rel32@lo+4
	s_addc_u32 s9, s9, __PRETTY_FUNCTION__._ZN7VecsMemIjLi8192EE5fetchEi@rel32@hi+12
	s_waitcnt vmcnt(0)
	v_mov_b32_e32 v0, s4
	v_mov_b32_e32 v1, s5
	;; [unrolled: 1-line block ×7, first 2 shown]
	s_getpc_b64 s[10:11]
	s_add_u32 s10, s10, __assert_fail@rel32@lo+4
	s_addc_u32 s11, s11, __assert_fail@rel32@hi+12
	s_mov_b64 s[8:9], s[34:35]
	s_swappc_b64 s[30:31], s[10:11]
	s_or_b32 s4, s21, exec_lo
.LBB2_404:
	s_or_b32 exec_lo, exec_lo, s25
	v_mov_b32_e32 v64, -1
	v_mov_b32_e32 v52, -1
	s_andn2_b32 s5, s22, exec_lo
	s_and_b32 s6, s24, exec_lo
	s_andn2_b32 s7, s21, exec_lo
	s_and_b32 s4, s4, exec_lo
	s_or_b32 s22, s5, s6
	s_or_b32 s21, s7, s4
.LBB2_405:
	s_or_b32 exec_lo, exec_lo, s23
	s_andn2_b32 s6, s36, exec_lo
	s_and_b32 s7, s21, exec_lo
	s_and_b32 s4, s22, exec_lo
	s_xor_b32 s5, exec_lo, -1
	s_or_b32 s6, s6, s7
.LBB2_406:
	s_or_b32 exec_lo, exec_lo, s38
	s_andn2_b32 s7, s36, exec_lo
	s_and_b32 s6, s6, exec_lo
	s_and_b32 s4, s4, exec_lo
	;; [unrolled: 1-line block ×3, first 2 shown]
	s_or_b32 s36, s7, s6
	s_or_b32 exec_lo, exec_lo, s37
	s_and_saveexec_b32 s5, s36
	s_xor_b32 s5, exec_lo, s5
	s_cbranch_execnz .LBB2_8
.LBB2_407:
	s_or_b32 exec_lo, exec_lo, s5
	s_and_saveexec_b32 s5, s21
	s_cbranch_execz .LBB2_409
.LBB2_408:
	v_mov_b32_e32 v64, 0
	s_or_b32 s4, s4, exec_lo
	v_mov_b32_e32 v65, v64
	v_mov_b32_e32 v66, v64
	;; [unrolled: 1-line block ×4, first 2 shown]
	flat_store_dwordx4 v[41:42], v[64:67]
.LBB2_409:
	s_or_b32 exec_lo, exec_lo, s5
	s_and_saveexec_b32 s5, s4
; %bb.410:
	v_mov_b32_e32 v52, v64
; %bb.411:
	s_or_b32 exec_lo, exec_lo, s5
	s_clause 0xa
	buffer_load_dword v58, off, s[0:3], s33
	buffer_load_dword v57, off, s[0:3], s33 offset:4
	buffer_load_dword v56, off, s[0:3], s33 offset:8
	;; [unrolled: 1-line block ×10, first 2 shown]
	v_readlane_b32 s30, v59, 12
	v_mov_b32_e32 v0, v52
	v_readlane_b32 s31, v59, 13
	v_readlane_b32 s53, v59, 11
	;; [unrolled: 1-line block ×13, first 2 shown]
	s_mov_b32 s32, s33
	v_readlane_b32 s4, v59, 14
	s_or_saveexec_b32 s5, -1
	buffer_load_dword v59, off, s[0:3], s33 offset:96 ; 4-byte Folded Reload
	s_mov_b32 exec_lo, s5
	s_mov_b32 s33, s4
	s_waitcnt vmcnt(0) lgkmcnt(0)
	s_setpc_b64 s[30:31]
.Lfunc_end2:
	.size	_ZN3sop14minatoIsop5RecEjjiPNS_3SopEP7VecsMemIjLi8192EE, .Lfunc_end2-_ZN3sop14minatoIsop5RecEjjiPNS_3SopEP7VecsMemIjLi8192EE
                                        ; -- End function
	.set .L_ZN3sop14minatoIsop5RecEjjiPNS_3SopEP7VecsMemIjLi8192EE.num_vgpr, max(68, .L__assert_fail.num_vgpr)
	.set .L_ZN3sop14minatoIsop5RecEjjiPNS_3SopEP7VecsMemIjLi8192EE.num_agpr, max(0, .L__assert_fail.num_agpr)
	.set .L_ZN3sop14minatoIsop5RecEjjiPNS_3SopEP7VecsMemIjLi8192EE.numbered_sgpr, max(54, .L__assert_fail.numbered_sgpr)
	.set .L_ZN3sop14minatoIsop5RecEjjiPNS_3SopEP7VecsMemIjLi8192EE.num_named_barrier, max(0, .L__assert_fail.num_named_barrier)
	.set .L_ZN3sop14minatoIsop5RecEjjiPNS_3SopEP7VecsMemIjLi8192EE.private_seg_size, 112+max(.L__assert_fail.private_seg_size)
	.set .L_ZN3sop14minatoIsop5RecEjjiPNS_3SopEP7VecsMemIjLi8192EE.uses_vcc, or(1, .L__assert_fail.uses_vcc)
	.set .L_ZN3sop14minatoIsop5RecEjjiPNS_3SopEP7VecsMemIjLi8192EE.uses_flat_scratch, or(0, .L__assert_fail.uses_flat_scratch)
	.set .L_ZN3sop14minatoIsop5RecEjjiPNS_3SopEP7VecsMemIjLi8192EE.has_dyn_sized_stack, or(0, .L__assert_fail.has_dyn_sized_stack)
	.set .L_ZN3sop14minatoIsop5RecEjjiPNS_3SopEP7VecsMemIjLi8192EE.has_recursion, or(1, .L__assert_fail.has_recursion)
	.set .L_ZN3sop14minatoIsop5RecEjjiPNS_3SopEP7VecsMemIjLi8192EE.has_indirect_call, or(0, .L__assert_fail.has_indirect_call)
	.section	.AMDGPU.csdata,"",@progbits
; Function info:
; codeLenInByte = 14276
; TotalNumSgprs: 56
; NumVgprs: 68
; ScratchSize: 176
; MemoryBound: 0
	.text
	.p2align	2                               ; -- Begin function _ZN3sop13minatoIsopRecEPKjS1_iPNS_3SopEP7VecsMemIjLi8192EE
	.type	_ZN3sop13minatoIsopRecEPKjS1_iPNS_3SopEP7VecsMemIjLi8192EE,@function
_ZN3sop13minatoIsopRecEPKjS1_iPNS_3SopEP7VecsMemIjLi8192EE: ; @_ZN3sop13minatoIsopRecEPKjS1_iPNS_3SopEP7VecsMemIjLi8192EE
; %bb.0:
	s_waitcnt vmcnt(0) expcnt(0) lgkmcnt(0)
	s_mov_b32 s4, s33
	s_mov_b32 s33, s32
	s_or_saveexec_b32 s5, -1
	buffer_store_dword v79, off, s[0:3], s33 offset:144 ; 4-byte Folded Spill
	s_mov_b32 exec_lo, s5
	v_writelane_b32 v79, s4, 27
	s_addk_i32 s32, 0x1400
	buffer_store_dword v40, off, s[0:3], s33 offset:88 ; 4-byte Folded Spill
	buffer_store_dword v41, off, s[0:3], s33 offset:84 ; 4-byte Folded Spill
	;; [unrolled: 1-line block ×22, first 2 shown]
	buffer_store_dword v78, off, s[0:3], s33 ; 4-byte Folded Spill
	v_writelane_b32 v79, s34, 0
	v_writelane_b32 v79, s35, 1
	;; [unrolled: 1-line block ×27, first 2 shown]
	v_mov_b32_e32 v58, v0
	v_add_nc_u32_e32 v0, -5, v4
	v_cmp_lt_i32_e32 vcc_lo, 5, v4
	v_mov_b32_e32 v41, 0
	v_mov_b32_e32 v44, v8
	;; [unrolled: 1-line block ×3, first 2 shown]
	v_lshlrev_b32_e64 v0, v0, 1
	v_mov_b32_e32 v46, v6
	v_mov_b32_e32 v45, v5
	;; [unrolled: 1-line block ×5, first 2 shown]
	v_cndmask_b32_e32 v73, 1, v0, vcc_lo
	v_mov_b32_e32 v42, 0
	s_mov_b32 s64, 0
	s_mov_b32 s4, -1
	s_mov_b32 s21, exec_lo
	v_cmpx_lt_i32_e32 0, v73
	s_cbranch_execnz .LBB3_5
; %bb.1:
	s_or_b32 exec_lo, exec_lo, s21
	s_and_saveexec_b32 s65, s4
	s_cbranch_execnz .LBB3_143
.LBB3_2:
	s_or_b32 exec_lo, exec_lo, s65
	s_and_saveexec_b32 s4, s64
.LBB3_3:
	; divergent unreachable
.LBB3_4:
	s_or_b32 exec_lo, exec_lo, s4
	v_mov_b32_e32 v0, v41
	v_mov_b32_e32 v1, v42
	s_clause 0x16
	buffer_load_dword v78, off, s[0:3], s33
	buffer_load_dword v77, off, s[0:3], s33 offset:4
	buffer_load_dword v76, off, s[0:3], s33 offset:8
	;; [unrolled: 1-line block ×22, first 2 shown]
	v_readlane_b32 s30, v79, 25
	v_readlane_b32 s31, v79, 26
	;; [unrolled: 1-line block ×27, first 2 shown]
	s_mov_b32 s32, s33
	v_readlane_b32 s4, v79, 27
	s_or_saveexec_b32 s5, -1
	buffer_load_dword v79, off, s[0:3], s33 offset:144 ; 4-byte Folded Reload
	s_mov_b32 exec_lo, s5
	s_mov_b32 s33, s4
	s_waitcnt vmcnt(0) lgkmcnt(0)
	s_setpc_b64 s[30:31]
.LBB3_5:
	flat_load_dword v0, v[43:44]
	v_mov_b32_e32 v41, 0
	v_mov_b32_e32 v42, 0
	s_mov_b32 s4, 0
	s_mov_b32 s24, 0
	s_mov_b32 s5, exec_lo
	s_waitcnt vmcnt(0) lgkmcnt(0)
	v_add_nc_u32_e32 v0, v0, v73
	v_cmpx_gt_i32_e32 0x2001, v0
	s_xor_b32 s5, exec_lo, s5
	s_cbranch_execz .LBB3_7
; %bb.6:
	v_ashrrev_i32_e32 v1, 31, v0
	v_mov_b32_e32 v74, 0
	s_mov_b32 s24, exec_lo
	flat_store_dword v[43:44], v0
	v_lshlrev_b64 v[1:2], 2, v[0:1]
	v_lshlrev_b64 v[5:6], 2, v[73:74]
	v_add_co_u32 v1, vcc_lo, v43, v1
	v_add_co_ci_u32_e64 v2, null, v44, v2, vcc_lo
	v_sub_co_u32 v1, vcc_lo, v1, v5
	v_sub_co_ci_u32_e64 v2, null, v2, v6, vcc_lo
	v_add_co_u32 v41, vcc_lo, v1, 4
	v_add_co_ci_u32_e64 v42, null, 0, v2, vcc_lo
.LBB3_7:
	s_andn2_saveexec_b32 s25, s5
	s_cbranch_execz .LBB3_142
; %bb.8:
	s_load_dwordx2 s[6:7], s[8:9], 0x50
	v_mbcnt_lo_u32_b32 v30, -1, 0
	v_mov_b32_e32 v7, 0
	v_mov_b32_e32 v8, 0
	v_readfirstlane_b32 s4, v30
	v_cmp_eq_u32_e64 s4, s4, v30
	s_and_saveexec_b32 s5, s4
	s_cbranch_execz .LBB3_14
; %bb.9:
	v_mov_b32_e32 v0, 0
	s_mov_b32 s10, exec_lo
	s_waitcnt lgkmcnt(0)
	global_load_dwordx2 v[9:10], v0, s[6:7] offset:24 glc dlc
	s_waitcnt vmcnt(0)
	buffer_gl1_inv
	buffer_gl0_inv
	s_clause 0x1
	global_load_dwordx2 v[1:2], v0, s[6:7] offset:40
	global_load_dwordx2 v[5:6], v0, s[6:7]
	s_waitcnt vmcnt(1)
	v_and_b32_e32 v2, v2, v10
	v_and_b32_e32 v1, v1, v9
	v_mul_lo_u32 v2, v2, 24
	v_mul_hi_u32 v3, v1, 24
	v_mul_lo_u32 v1, v1, 24
	v_add_nc_u32_e32 v2, v3, v2
	s_waitcnt vmcnt(0)
	v_add_co_u32 v1, vcc_lo, v5, v1
	v_add_co_ci_u32_e64 v2, null, v6, v2, vcc_lo
	global_load_dwordx2 v[7:8], v[1:2], off glc dlc
	s_waitcnt vmcnt(0)
	global_atomic_cmpswap_x2 v[7:8], v0, v[7:10], s[6:7] offset:24 glc
	s_waitcnt vmcnt(0)
	buffer_gl1_inv
	buffer_gl0_inv
	v_cmpx_ne_u64_e64 v[7:8], v[9:10]
	s_cbranch_execz .LBB3_13
; %bb.10:
	s_mov_b32 s11, 0
	.p2align	6
.LBB3_11:                               ; =>This Inner Loop Header: Depth=1
	s_sleep 1
	s_clause 0x1
	global_load_dwordx2 v[1:2], v0, s[6:7] offset:40
	global_load_dwordx2 v[5:6], v0, s[6:7]
	v_mov_b32_e32 v10, v8
	v_mov_b32_e32 v9, v7
	s_waitcnt vmcnt(1)
	v_and_b32_e32 v1, v1, v9
	v_and_b32_e32 v2, v2, v10
	s_waitcnt vmcnt(0)
	v_mad_u64_u32 v[5:6], null, v1, 24, v[5:6]
	v_mov_b32_e32 v1, v6
	v_mad_u64_u32 v[1:2], null, v2, 24, v[1:2]
	v_mov_b32_e32 v6, v1
	global_load_dwordx2 v[7:8], v[5:6], off glc dlc
	s_waitcnt vmcnt(0)
	global_atomic_cmpswap_x2 v[7:8], v0, v[7:10], s[6:7] offset:24 glc
	s_waitcnt vmcnt(0)
	buffer_gl1_inv
	buffer_gl0_inv
	v_cmp_eq_u64_e32 vcc_lo, v[7:8], v[9:10]
	s_or_b32 s11, vcc_lo, s11
	s_andn2_b32 exec_lo, exec_lo, s11
	s_cbranch_execnz .LBB3_11
; %bb.12:
	s_or_b32 exec_lo, exec_lo, s11
.LBB3_13:
	s_or_b32 exec_lo, exec_lo, s10
.LBB3_14:
	s_or_b32 exec_lo, exec_lo, s5
	v_mov_b32_e32 v6, 0
	v_readfirstlane_b32 s11, v8
	v_readfirstlane_b32 s10, v7
	s_mov_b32 s5, exec_lo
	s_waitcnt lgkmcnt(0)
	s_clause 0x1
	global_load_dwordx2 v[9:10], v6, s[6:7] offset:40
	global_load_dwordx4 v[0:3], v6, s[6:7]
	s_waitcnt vmcnt(1)
	v_readfirstlane_b32 s12, v9
	v_readfirstlane_b32 s13, v10
	s_and_b64 s[12:13], s[12:13], s[10:11]
	s_mul_i32 s14, s13, 24
	s_mul_hi_u32 s15, s12, 24
	s_mul_i32 s16, s12, 24
	s_add_i32 s15, s15, s14
	s_waitcnt vmcnt(0)
	v_add_co_u32 v9, vcc_lo, v0, s16
	v_add_co_ci_u32_e64 v10, null, s15, v1, vcc_lo
	s_and_saveexec_b32 s14, s4
	s_cbranch_execz .LBB3_16
; %bb.15:
	v_mov_b32_e32 v5, s5
	v_mov_b32_e32 v7, 2
	;; [unrolled: 1-line block ×3, first 2 shown]
	global_store_dwordx4 v[9:10], v[5:8], off offset:8
.LBB3_16:
	s_or_b32 exec_lo, exec_lo, s14
	s_lshl_b64 s[12:13], s[12:13], 12
	v_lshlrev_b32_e32 v29, 6, v30
	v_add_co_u32 v2, vcc_lo, v2, s12
	v_add_co_ci_u32_e64 v3, null, s13, v3, vcc_lo
	s_mov_b32 s12, 0
	v_add_co_u32 v11, vcc_lo, v2, v29
	s_mov_b32 s15, s12
	s_mov_b32 s13, s12
	;; [unrolled: 1-line block ×3, first 2 shown]
	v_mov_b32_e32 v5, 33
	v_mov_b32_e32 v7, v6
	;; [unrolled: 1-line block ×3, first 2 shown]
	v_readfirstlane_b32 s16, v2
	v_readfirstlane_b32 s17, v3
	v_mov_b32_e32 v16, s15
	v_add_co_ci_u32_e64 v12, null, 0, v3, vcc_lo
	v_mov_b32_e32 v15, s14
	v_mov_b32_e32 v14, s13
	;; [unrolled: 1-line block ×3, first 2 shown]
	global_store_dwordx4 v29, v[5:8], s[16:17]
	global_store_dwordx4 v29, v[13:16], s[16:17] offset:16
	global_store_dwordx4 v29, v[13:16], s[16:17] offset:32
	global_store_dwordx4 v29, v[13:16], s[16:17] offset:48
	s_and_saveexec_b32 s5, s4
	s_cbranch_execz .LBB3_24
; %bb.17:
	v_mov_b32_e32 v7, 0
	v_mov_b32_e32 v13, s10
	;; [unrolled: 1-line block ×3, first 2 shown]
	s_mov_b32 s12, exec_lo
	s_clause 0x1
	global_load_dwordx2 v[15:16], v7, s[6:7] offset:32 glc dlc
	global_load_dwordx2 v[2:3], v7, s[6:7] offset:40
	s_waitcnt vmcnt(0)
	v_and_b32_e32 v3, s11, v3
	v_and_b32_e32 v2, s10, v2
	v_mul_lo_u32 v3, v3, 24
	v_mul_hi_u32 v5, v2, 24
	v_mul_lo_u32 v2, v2, 24
	v_add_nc_u32_e32 v3, v5, v3
	v_add_co_u32 v5, vcc_lo, v0, v2
	v_add_co_ci_u32_e64 v6, null, v1, v3, vcc_lo
	global_store_dwordx2 v[5:6], v[15:16], off
	s_waitcnt_vscnt null, 0x0
	global_atomic_cmpswap_x2 v[2:3], v7, v[13:16], s[6:7] offset:32 glc
	s_waitcnt vmcnt(0)
	v_cmpx_ne_u64_e64 v[2:3], v[15:16]
	s_cbranch_execz .LBB3_20
; %bb.18:
	s_mov_b32 s13, 0
.LBB3_19:                               ; =>This Inner Loop Header: Depth=1
	v_mov_b32_e32 v0, s10
	v_mov_b32_e32 v1, s11
	s_sleep 1
	global_store_dwordx2 v[5:6], v[2:3], off
	s_waitcnt_vscnt null, 0x0
	global_atomic_cmpswap_x2 v[0:1], v7, v[0:3], s[6:7] offset:32 glc
	s_waitcnt vmcnt(0)
	v_cmp_eq_u64_e32 vcc_lo, v[0:1], v[2:3]
	v_mov_b32_e32 v3, v1
	v_mov_b32_e32 v2, v0
	s_or_b32 s13, vcc_lo, s13
	s_andn2_b32 exec_lo, exec_lo, s13
	s_cbranch_execnz .LBB3_19
.LBB3_20:
	s_or_b32 exec_lo, exec_lo, s12
	v_mov_b32_e32 v3, 0
	s_mov_b32 s13, exec_lo
	s_mov_b32 s12, exec_lo
	v_mbcnt_lo_u32_b32 v2, s13, 0
	global_load_dwordx2 v[0:1], v3, s[6:7] offset:16
	v_cmpx_eq_u32_e32 0, v2
	s_cbranch_execz .LBB3_22
; %bb.21:
	s_bcnt1_i32_b32 s13, s13
	v_mov_b32_e32 v2, s13
	s_waitcnt vmcnt(0)
	global_atomic_add_x2 v[0:1], v[2:3], off offset:8
.LBB3_22:
	s_or_b32 exec_lo, exec_lo, s12
	s_waitcnt vmcnt(0)
	global_load_dwordx2 v[2:3], v[0:1], off offset:16
	s_waitcnt vmcnt(0)
	v_cmp_eq_u64_e32 vcc_lo, 0, v[2:3]
	s_cbranch_vccnz .LBB3_24
; %bb.23:
	global_load_dword v0, v[0:1], off offset:24
	v_mov_b32_e32 v1, 0
	s_waitcnt vmcnt(0)
	v_readfirstlane_b32 s12, v0
	s_waitcnt_vscnt null, 0x0
	global_store_dwordx2 v[2:3], v[0:1], off
	s_and_b32 m0, s12, 0x7fffff
	s_sendmsg sendmsg(MSG_INTERRUPT)
.LBB3_24:
	s_or_b32 exec_lo, exec_lo, s5
	s_branch .LBB3_28
	.p2align	6
.LBB3_25:                               ;   in Loop: Header=BB3_28 Depth=1
	s_or_b32 exec_lo, exec_lo, s5
	v_readfirstlane_b32 s5, v0
	s_cmp_eq_u32 s5, 0
	s_cbranch_scc1 .LBB3_27
; %bb.26:                               ;   in Loop: Header=BB3_28 Depth=1
	s_sleep 1
	s_cbranch_execnz .LBB3_28
	s_branch .LBB3_30
	.p2align	6
.LBB3_27:
	s_branch .LBB3_30
.LBB3_28:                               ; =>This Inner Loop Header: Depth=1
	v_mov_b32_e32 v0, 1
	s_and_saveexec_b32 s5, s4
	s_cbranch_execz .LBB3_25
; %bb.29:                               ;   in Loop: Header=BB3_28 Depth=1
	global_load_dword v0, v[9:10], off offset:20 glc dlc
	s_waitcnt vmcnt(0)
	buffer_gl1_inv
	buffer_gl0_inv
	v_and_b32_e32 v0, 1, v0
	s_branch .LBB3_25
.LBB3_30:
	global_load_dwordx2 v[0:1], v[11:12], off
	s_and_saveexec_b32 s12, s4
	s_cbranch_execz .LBB3_34
; %bb.31:
	v_mov_b32_e32 v9, 0
	s_clause 0x2
	global_load_dwordx2 v[2:3], v9, s[6:7] offset:40
	global_load_dwordx2 v[12:13], v9, s[6:7] offset:24 glc dlc
	global_load_dwordx2 v[5:6], v9, s[6:7]
	s_waitcnt vmcnt(2)
	v_readfirstlane_b32 s14, v2
	v_readfirstlane_b32 s15, v3
	s_add_u32 s13, s14, 1
	s_addc_u32 s16, s15, 0
	s_add_u32 s4, s13, s10
	s_addc_u32 s5, s16, s11
	s_cmp_eq_u64 s[4:5], 0
	s_cselect_b32 s5, s16, s5
	s_cselect_b32 s4, s13, s4
	v_mov_b32_e32 v11, s5
	s_and_b64 s[10:11], s[4:5], s[14:15]
	v_mov_b32_e32 v10, s4
	s_mul_i32 s11, s11, 24
	s_mul_hi_u32 s13, s10, 24
	s_mul_i32 s10, s10, 24
	s_add_i32 s13, s13, s11
	s_waitcnt vmcnt(0)
	v_add_co_u32 v2, vcc_lo, v5, s10
	v_add_co_ci_u32_e64 v3, null, s13, v6, vcc_lo
	global_store_dwordx2 v[2:3], v[12:13], off
	s_waitcnt_vscnt null, 0x0
	global_atomic_cmpswap_x2 v[7:8], v9, v[10:13], s[6:7] offset:24 glc
	s_waitcnt vmcnt(0)
	v_cmp_ne_u64_e32 vcc_lo, v[7:8], v[12:13]
	s_and_b32 exec_lo, exec_lo, vcc_lo
	s_cbranch_execz .LBB3_34
; %bb.32:
	s_mov_b32 s10, 0
.LBB3_33:                               ; =>This Inner Loop Header: Depth=1
	v_mov_b32_e32 v5, s4
	v_mov_b32_e32 v6, s5
	s_sleep 1
	global_store_dwordx2 v[2:3], v[7:8], off
	s_waitcnt_vscnt null, 0x0
	global_atomic_cmpswap_x2 v[5:6], v9, v[5:8], s[6:7] offset:24 glc
	s_waitcnt vmcnt(0)
	v_cmp_eq_u64_e32 vcc_lo, v[5:6], v[7:8]
	v_mov_b32_e32 v8, v6
	v_mov_b32_e32 v7, v5
	s_or_b32 s10, vcc_lo, s10
	s_andn2_b32 exec_lo, exec_lo, s10
	s_cbranch_execnz .LBB3_33
.LBB3_34:
	s_or_b32 exec_lo, exec_lo, s12
	s_getpc_b64 s[10:11]
	s_add_u32 s10, s10, .str.28@rel32@lo+4
	s_addc_u32 s11, s11, .str.28@rel32@hi+12
	s_cmp_lg_u64 s[10:11], 0
	s_cbranch_scc0 .LBB3_113
; %bb.35:
	s_waitcnt vmcnt(0)
	v_and_b32_e32 v9, -3, v0
	v_mov_b32_e32 v10, v1
	v_mov_b32_e32 v6, 0
	;; [unrolled: 1-line block ×4, first 2 shown]
	s_mov_b64 s[12:13], 35
	s_branch .LBB3_37
.LBB3_36:                               ;   in Loop: Header=BB3_37 Depth=1
	s_or_b32 exec_lo, exec_lo, s18
	s_sub_u32 s12, s12, s14
	s_subb_u32 s13, s13, s15
	s_add_u32 s10, s10, s14
	s_addc_u32 s11, s11, s15
	s_cmp_lg_u64 s[12:13], 0
	s_cbranch_scc0 .LBB3_112
.LBB3_37:                               ; =>This Loop Header: Depth=1
                                        ;     Child Loop BB3_40 Depth 2
                                        ;     Child Loop BB3_47 Depth 2
	;; [unrolled: 1-line block ×11, first 2 shown]
	v_cmp_lt_u64_e64 s4, s[12:13], 56
	v_cmp_gt_u64_e64 s16, s[12:13], 7
	s_and_b32 s4, s4, exec_lo
	s_cselect_b32 s15, s13, 0
	s_cselect_b32 s14, s12, 56
	s_add_u32 s4, s10, 8
	s_addc_u32 s5, s11, 0
	s_and_b32 vcc_lo, exec_lo, s16
	s_cbranch_vccnz .LBB3_42
; %bb.38:                               ;   in Loop: Header=BB3_37 Depth=1
	s_waitcnt vmcnt(0)
	v_mov_b32_e32 v11, 0
	v_mov_b32_e32 v12, 0
	s_cmp_eq_u64 s[12:13], 0
	s_cbranch_scc1 .LBB3_41
; %bb.39:                               ;   in Loop: Header=BB3_37 Depth=1
	s_lshl_b64 s[4:5], s[14:15], 3
	s_mov_b64 s[16:17], 0
	s_mov_b64 s[18:19], s[10:11]
.LBB3_40:                               ;   Parent Loop BB3_37 Depth=1
                                        ; =>  This Inner Loop Header: Depth=2
	global_load_ubyte v2, v6, s[18:19]
	s_waitcnt vmcnt(0)
	v_and_b32_e32 v5, 0xffff, v2
	v_lshlrev_b64 v[2:3], s16, v[5:6]
	s_add_u32 s16, s16, 8
	s_addc_u32 s17, s17, 0
	s_add_u32 s18, s18, 1
	s_addc_u32 s19, s19, 0
	s_cmp_lg_u32 s4, s16
	v_or_b32_e32 v11, v2, v11
	v_or_b32_e32 v12, v3, v12
	s_cbranch_scc1 .LBB3_40
.LBB3_41:                               ;   in Loop: Header=BB3_37 Depth=1
	s_mov_b64 s[4:5], s[10:11]
	s_mov_b32 s20, 0
	s_cbranch_execz .LBB3_43
	s_branch .LBB3_44
.LBB3_42:                               ;   in Loop: Header=BB3_37 Depth=1
	s_mov_b32 s20, 0
.LBB3_43:                               ;   in Loop: Header=BB3_37 Depth=1
	global_load_dwordx2 v[11:12], v6, s[10:11]
	s_add_i32 s20, s14, -8
.LBB3_44:                               ;   in Loop: Header=BB3_37 Depth=1
	s_add_u32 s16, s4, 8
	s_addc_u32 s17, s5, 0
	s_cmp_gt_u32 s20, 7
	s_cbranch_scc1 .LBB3_49
; %bb.45:                               ;   in Loop: Header=BB3_37 Depth=1
	v_mov_b32_e32 v13, 0
	v_mov_b32_e32 v14, 0
	s_cmp_eq_u32 s20, 0
	s_cbranch_scc1 .LBB3_48
; %bb.46:                               ;   in Loop: Header=BB3_37 Depth=1
	s_mov_b64 s[16:17], 0
	s_mov_b64 s[18:19], 0
.LBB3_47:                               ;   Parent Loop BB3_37 Depth=1
                                        ; =>  This Inner Loop Header: Depth=2
	s_add_u32 s22, s4, s18
	s_addc_u32 s23, s5, s19
	s_add_u32 s18, s18, 1
	global_load_ubyte v2, v6, s[22:23]
	s_addc_u32 s19, s19, 0
	s_waitcnt vmcnt(0)
	v_and_b32_e32 v5, 0xffff, v2
	v_lshlrev_b64 v[2:3], s16, v[5:6]
	s_add_u32 s16, s16, 8
	s_addc_u32 s17, s17, 0
	s_cmp_lg_u32 s20, s18
	v_or_b32_e32 v13, v2, v13
	v_or_b32_e32 v14, v3, v14
	s_cbranch_scc1 .LBB3_47
.LBB3_48:                               ;   in Loop: Header=BB3_37 Depth=1
	s_mov_b64 s[16:17], s[4:5]
	s_mov_b32 s22, 0
	s_cbranch_execz .LBB3_50
	s_branch .LBB3_51
.LBB3_49:                               ;   in Loop: Header=BB3_37 Depth=1
                                        ; implicit-def: $vgpr13_vgpr14
	s_mov_b32 s22, 0
.LBB3_50:                               ;   in Loop: Header=BB3_37 Depth=1
	global_load_dwordx2 v[13:14], v6, s[4:5]
	s_add_i32 s22, s20, -8
.LBB3_51:                               ;   in Loop: Header=BB3_37 Depth=1
	s_add_u32 s4, s16, 8
	s_addc_u32 s5, s17, 0
	s_cmp_gt_u32 s22, 7
	s_cbranch_scc1 .LBB3_56
; %bb.52:                               ;   in Loop: Header=BB3_37 Depth=1
	v_mov_b32_e32 v15, 0
	v_mov_b32_e32 v16, 0
	s_cmp_eq_u32 s22, 0
	s_cbranch_scc1 .LBB3_55
; %bb.53:                               ;   in Loop: Header=BB3_37 Depth=1
	s_mov_b64 s[4:5], 0
	s_mov_b64 s[18:19], 0
.LBB3_54:                               ;   Parent Loop BB3_37 Depth=1
                                        ; =>  This Inner Loop Header: Depth=2
	s_add_u32 s26, s16, s18
	s_addc_u32 s27, s17, s19
	s_add_u32 s18, s18, 1
	global_load_ubyte v2, v6, s[26:27]
	s_addc_u32 s19, s19, 0
	s_waitcnt vmcnt(0)
	v_and_b32_e32 v5, 0xffff, v2
	v_lshlrev_b64 v[2:3], s4, v[5:6]
	s_add_u32 s4, s4, 8
	s_addc_u32 s5, s5, 0
	s_cmp_lg_u32 s22, s18
	v_or_b32_e32 v15, v2, v15
	v_or_b32_e32 v16, v3, v16
	s_cbranch_scc1 .LBB3_54
.LBB3_55:                               ;   in Loop: Header=BB3_37 Depth=1
	s_mov_b64 s[4:5], s[16:17]
	s_mov_b32 s20, 0
	s_cbranch_execz .LBB3_57
	s_branch .LBB3_58
.LBB3_56:                               ;   in Loop: Header=BB3_37 Depth=1
	s_mov_b32 s20, 0
.LBB3_57:                               ;   in Loop: Header=BB3_37 Depth=1
	global_load_dwordx2 v[15:16], v6, s[16:17]
	s_add_i32 s20, s22, -8
.LBB3_58:                               ;   in Loop: Header=BB3_37 Depth=1
	s_add_u32 s16, s4, 8
	s_addc_u32 s17, s5, 0
	s_cmp_gt_u32 s20, 7
	s_cbranch_scc1 .LBB3_63
; %bb.59:                               ;   in Loop: Header=BB3_37 Depth=1
	v_mov_b32_e32 v17, 0
	v_mov_b32_e32 v18, 0
	s_cmp_eq_u32 s20, 0
	s_cbranch_scc1 .LBB3_62
; %bb.60:                               ;   in Loop: Header=BB3_37 Depth=1
	s_mov_b64 s[16:17], 0
	s_mov_b64 s[18:19], 0
.LBB3_61:                               ;   Parent Loop BB3_37 Depth=1
                                        ; =>  This Inner Loop Header: Depth=2
	s_add_u32 s22, s4, s18
	s_addc_u32 s23, s5, s19
	s_add_u32 s18, s18, 1
	global_load_ubyte v2, v6, s[22:23]
	s_addc_u32 s19, s19, 0
	s_waitcnt vmcnt(0)
	v_and_b32_e32 v5, 0xffff, v2
	v_lshlrev_b64 v[2:3], s16, v[5:6]
	s_add_u32 s16, s16, 8
	s_addc_u32 s17, s17, 0
	s_cmp_lg_u32 s20, s18
	v_or_b32_e32 v17, v2, v17
	v_or_b32_e32 v18, v3, v18
	s_cbranch_scc1 .LBB3_61
.LBB3_62:                               ;   in Loop: Header=BB3_37 Depth=1
	s_mov_b64 s[16:17], s[4:5]
	s_mov_b32 s22, 0
	s_cbranch_execz .LBB3_64
	s_branch .LBB3_65
.LBB3_63:                               ;   in Loop: Header=BB3_37 Depth=1
                                        ; implicit-def: $vgpr17_vgpr18
	s_mov_b32 s22, 0
.LBB3_64:                               ;   in Loop: Header=BB3_37 Depth=1
	global_load_dwordx2 v[17:18], v6, s[4:5]
	s_add_i32 s22, s20, -8
.LBB3_65:                               ;   in Loop: Header=BB3_37 Depth=1
	s_add_u32 s4, s16, 8
	s_addc_u32 s5, s17, 0
	s_cmp_gt_u32 s22, 7
	s_cbranch_scc1 .LBB3_70
; %bb.66:                               ;   in Loop: Header=BB3_37 Depth=1
	v_mov_b32_e32 v19, 0
	v_mov_b32_e32 v20, 0
	s_cmp_eq_u32 s22, 0
	s_cbranch_scc1 .LBB3_69
; %bb.67:                               ;   in Loop: Header=BB3_37 Depth=1
	s_mov_b64 s[4:5], 0
	s_mov_b64 s[18:19], 0
.LBB3_68:                               ;   Parent Loop BB3_37 Depth=1
                                        ; =>  This Inner Loop Header: Depth=2
	s_add_u32 s26, s16, s18
	s_addc_u32 s27, s17, s19
	s_add_u32 s18, s18, 1
	global_load_ubyte v2, v6, s[26:27]
	s_addc_u32 s19, s19, 0
	s_waitcnt vmcnt(0)
	v_and_b32_e32 v5, 0xffff, v2
	v_lshlrev_b64 v[2:3], s4, v[5:6]
	s_add_u32 s4, s4, 8
	s_addc_u32 s5, s5, 0
	s_cmp_lg_u32 s22, s18
	v_or_b32_e32 v19, v2, v19
	v_or_b32_e32 v20, v3, v20
	s_cbranch_scc1 .LBB3_68
.LBB3_69:                               ;   in Loop: Header=BB3_37 Depth=1
	s_mov_b64 s[4:5], s[16:17]
	s_mov_b32 s20, 0
	s_cbranch_execz .LBB3_71
	s_branch .LBB3_72
.LBB3_70:                               ;   in Loop: Header=BB3_37 Depth=1
	s_mov_b32 s20, 0
.LBB3_71:                               ;   in Loop: Header=BB3_37 Depth=1
	global_load_dwordx2 v[19:20], v6, s[16:17]
	s_add_i32 s20, s22, -8
.LBB3_72:                               ;   in Loop: Header=BB3_37 Depth=1
	s_add_u32 s16, s4, 8
	s_addc_u32 s17, s5, 0
	s_cmp_gt_u32 s20, 7
	s_cbranch_scc1 .LBB3_77
; %bb.73:                               ;   in Loop: Header=BB3_37 Depth=1
	v_mov_b32_e32 v21, 0
	v_mov_b32_e32 v22, 0
	s_cmp_eq_u32 s20, 0
	s_cbranch_scc1 .LBB3_76
; %bb.74:                               ;   in Loop: Header=BB3_37 Depth=1
	s_mov_b64 s[16:17], 0
	s_mov_b64 s[18:19], 0
.LBB3_75:                               ;   Parent Loop BB3_37 Depth=1
                                        ; =>  This Inner Loop Header: Depth=2
	s_add_u32 s22, s4, s18
	s_addc_u32 s23, s5, s19
	s_add_u32 s18, s18, 1
	global_load_ubyte v2, v6, s[22:23]
	s_addc_u32 s19, s19, 0
	s_waitcnt vmcnt(0)
	v_and_b32_e32 v5, 0xffff, v2
	v_lshlrev_b64 v[2:3], s16, v[5:6]
	s_add_u32 s16, s16, 8
	s_addc_u32 s17, s17, 0
	s_cmp_lg_u32 s20, s18
	v_or_b32_e32 v21, v2, v21
	v_or_b32_e32 v22, v3, v22
	s_cbranch_scc1 .LBB3_75
.LBB3_76:                               ;   in Loop: Header=BB3_37 Depth=1
	s_mov_b64 s[16:17], s[4:5]
	s_mov_b32 s22, 0
	s_cbranch_execz .LBB3_78
	s_branch .LBB3_79
.LBB3_77:                               ;   in Loop: Header=BB3_37 Depth=1
                                        ; implicit-def: $vgpr21_vgpr22
	s_mov_b32 s22, 0
.LBB3_78:                               ;   in Loop: Header=BB3_37 Depth=1
	global_load_dwordx2 v[21:22], v6, s[4:5]
	s_add_i32 s22, s20, -8
.LBB3_79:                               ;   in Loop: Header=BB3_37 Depth=1
	s_cmp_gt_u32 s22, 7
	s_cbranch_scc1 .LBB3_84
; %bb.80:                               ;   in Loop: Header=BB3_37 Depth=1
	v_mov_b32_e32 v23, 0
	v_mov_b32_e32 v24, 0
	s_cmp_eq_u32 s22, 0
	s_cbranch_scc1 .LBB3_83
; %bb.81:                               ;   in Loop: Header=BB3_37 Depth=1
	s_mov_b64 s[4:5], 0
	s_mov_b64 s[18:19], s[16:17]
.LBB3_82:                               ;   Parent Loop BB3_37 Depth=1
                                        ; =>  This Inner Loop Header: Depth=2
	global_load_ubyte v2, v6, s[18:19]
	s_add_i32 s22, s22, -1
	s_waitcnt vmcnt(0)
	v_and_b32_e32 v5, 0xffff, v2
	v_lshlrev_b64 v[2:3], s4, v[5:6]
	s_add_u32 s4, s4, 8
	s_addc_u32 s5, s5, 0
	s_add_u32 s18, s18, 1
	s_addc_u32 s19, s19, 0
	s_cmp_lg_u32 s22, 0
	v_or_b32_e32 v23, v2, v23
	v_or_b32_e32 v24, v3, v24
	s_cbranch_scc1 .LBB3_82
.LBB3_83:                               ;   in Loop: Header=BB3_37 Depth=1
	s_cbranch_execz .LBB3_85
	s_branch .LBB3_86
.LBB3_84:                               ;   in Loop: Header=BB3_37 Depth=1
.LBB3_85:                               ;   in Loop: Header=BB3_37 Depth=1
	global_load_dwordx2 v[23:24], v6, s[16:17]
.LBB3_86:                               ;   in Loop: Header=BB3_37 Depth=1
	v_readfirstlane_b32 s4, v30
	v_mov_b32_e32 v2, 0
	v_mov_b32_e32 v3, 0
	v_cmp_eq_u32_e64 s4, s4, v30
	s_and_saveexec_b32 s5, s4
	s_cbranch_execz .LBB3_92
; %bb.87:                               ;   in Loop: Header=BB3_37 Depth=1
	global_load_dwordx2 v[27:28], v6, s[6:7] offset:24 glc dlc
	s_waitcnt vmcnt(0)
	buffer_gl1_inv
	buffer_gl0_inv
	s_clause 0x1
	global_load_dwordx2 v[2:3], v6, s[6:7] offset:40
	global_load_dwordx2 v[25:26], v6, s[6:7]
	s_mov_b32 s16, exec_lo
	s_waitcnt vmcnt(1)
	v_and_b32_e32 v3, v3, v28
	v_and_b32_e32 v2, v2, v27
	v_mul_lo_u32 v3, v3, 24
	v_mul_hi_u32 v5, v2, 24
	v_mul_lo_u32 v2, v2, 24
	v_add_nc_u32_e32 v3, v5, v3
	s_waitcnt vmcnt(0)
	v_add_co_u32 v2, vcc_lo, v25, v2
	v_add_co_ci_u32_e64 v3, null, v26, v3, vcc_lo
	global_load_dwordx2 v[25:26], v[2:3], off glc dlc
	s_waitcnt vmcnt(0)
	global_atomic_cmpswap_x2 v[2:3], v6, v[25:28], s[6:7] offset:24 glc
	s_waitcnt vmcnt(0)
	buffer_gl1_inv
	buffer_gl0_inv
	v_cmpx_ne_u64_e64 v[2:3], v[27:28]
	s_cbranch_execz .LBB3_91
; %bb.88:                               ;   in Loop: Header=BB3_37 Depth=1
	s_mov_b32 s17, 0
	.p2align	6
.LBB3_89:                               ;   Parent Loop BB3_37 Depth=1
                                        ; =>  This Inner Loop Header: Depth=2
	s_sleep 1
	s_clause 0x1
	global_load_dwordx2 v[25:26], v6, s[6:7] offset:40
	global_load_dwordx2 v[31:32], v6, s[6:7]
	v_mov_b32_e32 v28, v3
	v_mov_b32_e32 v27, v2
	s_waitcnt vmcnt(1)
	v_and_b32_e32 v2, v25, v27
	v_and_b32_e32 v5, v26, v28
	s_waitcnt vmcnt(0)
	v_mad_u64_u32 v[2:3], null, v2, 24, v[31:32]
	v_mad_u64_u32 v[25:26], null, v5, 24, v[3:4]
	v_mov_b32_e32 v3, v25
	global_load_dwordx2 v[25:26], v[2:3], off glc dlc
	s_waitcnt vmcnt(0)
	global_atomic_cmpswap_x2 v[2:3], v6, v[25:28], s[6:7] offset:24 glc
	s_waitcnt vmcnt(0)
	buffer_gl1_inv
	buffer_gl0_inv
	v_cmp_eq_u64_e32 vcc_lo, v[2:3], v[27:28]
	s_or_b32 s17, vcc_lo, s17
	s_andn2_b32 exec_lo, exec_lo, s17
	s_cbranch_execnz .LBB3_89
; %bb.90:                               ;   in Loop: Header=BB3_37 Depth=1
	s_or_b32 exec_lo, exec_lo, s17
.LBB3_91:                               ;   in Loop: Header=BB3_37 Depth=1
	s_or_b32 exec_lo, exec_lo, s16
.LBB3_92:                               ;   in Loop: Header=BB3_37 Depth=1
	s_or_b32 exec_lo, exec_lo, s5
	s_clause 0x1
	global_load_dwordx2 v[31:32], v6, s[6:7] offset:40
	global_load_dwordx4 v[25:28], v6, s[6:7]
	v_readfirstlane_b32 s17, v3
	v_readfirstlane_b32 s16, v2
	s_mov_b32 s5, exec_lo
	s_waitcnt vmcnt(1)
	v_readfirstlane_b32 s18, v31
	v_readfirstlane_b32 s19, v32
	s_and_b64 s[18:19], s[18:19], s[16:17]
	s_mul_i32 s20, s19, 24
	s_mul_hi_u32 s22, s18, 24
	s_mul_i32 s23, s18, 24
	s_add_i32 s22, s22, s20
	s_waitcnt vmcnt(0)
	v_add_co_u32 v2, vcc_lo, v25, s23
	v_add_co_ci_u32_e64 v3, null, s22, v26, vcc_lo
	s_and_saveexec_b32 s20, s4
	s_cbranch_execz .LBB3_94
; %bb.93:                               ;   in Loop: Header=BB3_37 Depth=1
	v_mov_b32_e32 v5, s5
	global_store_dwordx4 v[2:3], v[5:8], off offset:8
.LBB3_94:                               ;   in Loop: Header=BB3_37 Depth=1
	s_or_b32 exec_lo, exec_lo, s20
	v_cmp_gt_u64_e64 s5, s[12:13], 56
	s_lshl_b64 s[18:19], s[18:19], 12
	v_and_b32_e32 v5, 0xffffff1f, v9
	v_add_co_u32 v27, vcc_lo, v27, s18
	v_add_co_ci_u32_e64 v28, null, s19, v28, vcc_lo
	s_and_b32 s5, s5, exec_lo
	s_cselect_b32 s5, 0, 2
	s_lshl_b32 s20, s14, 2
	v_or_b32_e32 v5, s5, v5
	v_readfirstlane_b32 s18, v27
	v_readfirstlane_b32 s19, v28
	s_add_i32 s20, s20, 28
	v_and_or_b32 v9, 0x1e0, s20, v5
	global_store_dwordx4 v29, v[13:16], s[18:19] offset:16
	global_store_dwordx4 v29, v[17:20], s[18:19] offset:32
	global_store_dwordx4 v29, v[9:12], s[18:19]
	global_store_dwordx4 v29, v[21:24], s[18:19] offset:48
	s_and_saveexec_b32 s5, s4
	s_cbranch_execz .LBB3_102
; %bb.95:                               ;   in Loop: Header=BB3_37 Depth=1
	s_clause 0x1
	global_load_dwordx2 v[17:18], v6, s[6:7] offset:32 glc dlc
	global_load_dwordx2 v[9:10], v6, s[6:7] offset:40
	v_mov_b32_e32 v15, s16
	v_mov_b32_e32 v16, s17
	s_waitcnt vmcnt(0)
	v_readfirstlane_b32 s18, v9
	v_readfirstlane_b32 s19, v10
	s_and_b64 s[18:19], s[18:19], s[16:17]
	s_mul_i32 s19, s19, 24
	s_mul_hi_u32 s20, s18, 24
	s_mul_i32 s18, s18, 24
	s_add_i32 s20, s20, s19
	v_add_co_u32 v13, vcc_lo, v25, s18
	v_add_co_ci_u32_e64 v14, null, s20, v26, vcc_lo
	s_mov_b32 s18, exec_lo
	global_store_dwordx2 v[13:14], v[17:18], off
	s_waitcnt_vscnt null, 0x0
	global_atomic_cmpswap_x2 v[11:12], v6, v[15:18], s[6:7] offset:32 glc
	s_waitcnt vmcnt(0)
	v_cmpx_ne_u64_e64 v[11:12], v[17:18]
	s_cbranch_execz .LBB3_98
; %bb.96:                               ;   in Loop: Header=BB3_37 Depth=1
	s_mov_b32 s19, 0
.LBB3_97:                               ;   Parent Loop BB3_37 Depth=1
                                        ; =>  This Inner Loop Header: Depth=2
	v_mov_b32_e32 v9, s16
	v_mov_b32_e32 v10, s17
	s_sleep 1
	global_store_dwordx2 v[13:14], v[11:12], off
	s_waitcnt_vscnt null, 0x0
	global_atomic_cmpswap_x2 v[9:10], v6, v[9:12], s[6:7] offset:32 glc
	s_waitcnt vmcnt(0)
	v_cmp_eq_u64_e32 vcc_lo, v[9:10], v[11:12]
	v_mov_b32_e32 v12, v10
	v_mov_b32_e32 v11, v9
	s_or_b32 s19, vcc_lo, s19
	s_andn2_b32 exec_lo, exec_lo, s19
	s_cbranch_execnz .LBB3_97
.LBB3_98:                               ;   in Loop: Header=BB3_37 Depth=1
	s_or_b32 exec_lo, exec_lo, s18
	global_load_dwordx2 v[9:10], v6, s[6:7] offset:16
	s_mov_b32 s19, exec_lo
	s_mov_b32 s18, exec_lo
	v_mbcnt_lo_u32_b32 v5, s19, 0
	v_cmpx_eq_u32_e32 0, v5
	s_cbranch_execz .LBB3_100
; %bb.99:                               ;   in Loop: Header=BB3_37 Depth=1
	s_bcnt1_i32_b32 s19, s19
	v_mov_b32_e32 v5, s19
	s_waitcnt vmcnt(0)
	global_atomic_add_x2 v[9:10], v[5:6], off offset:8
.LBB3_100:                              ;   in Loop: Header=BB3_37 Depth=1
	s_or_b32 exec_lo, exec_lo, s18
	s_waitcnt vmcnt(0)
	global_load_dwordx2 v[11:12], v[9:10], off offset:16
	s_waitcnt vmcnt(0)
	v_cmp_eq_u64_e32 vcc_lo, 0, v[11:12]
	s_cbranch_vccnz .LBB3_102
; %bb.101:                              ;   in Loop: Header=BB3_37 Depth=1
	global_load_dword v5, v[9:10], off offset:24
	s_waitcnt vmcnt(0)
	v_readfirstlane_b32 s18, v5
	s_waitcnt_vscnt null, 0x0
	global_store_dwordx2 v[11:12], v[5:6], off
	s_and_b32 m0, s18, 0x7fffff
	s_sendmsg sendmsg(MSG_INTERRUPT)
.LBB3_102:                              ;   in Loop: Header=BB3_37 Depth=1
	s_or_b32 exec_lo, exec_lo, s5
	v_add_co_u32 v9, vcc_lo, v27, v29
	v_add_co_ci_u32_e64 v10, null, 0, v28, vcc_lo
	s_branch .LBB3_106
	.p2align	6
.LBB3_103:                              ;   in Loop: Header=BB3_106 Depth=2
	s_or_b32 exec_lo, exec_lo, s5
	v_readfirstlane_b32 s5, v5
	s_cmp_eq_u32 s5, 0
	s_cbranch_scc1 .LBB3_105
; %bb.104:                              ;   in Loop: Header=BB3_106 Depth=2
	s_sleep 1
	s_cbranch_execnz .LBB3_106
	s_branch .LBB3_108
	.p2align	6
.LBB3_105:                              ;   in Loop: Header=BB3_37 Depth=1
	s_branch .LBB3_108
.LBB3_106:                              ;   Parent Loop BB3_37 Depth=1
                                        ; =>  This Inner Loop Header: Depth=2
	v_mov_b32_e32 v5, 1
	s_and_saveexec_b32 s5, s4
	s_cbranch_execz .LBB3_103
; %bb.107:                              ;   in Loop: Header=BB3_106 Depth=2
	global_load_dword v5, v[2:3], off offset:20 glc dlc
	s_waitcnt vmcnt(0)
	buffer_gl1_inv
	buffer_gl0_inv
	v_and_b32_e32 v5, 1, v5
	s_branch .LBB3_103
.LBB3_108:                              ;   in Loop: Header=BB3_37 Depth=1
	global_load_dwordx4 v[9:12], v[9:10], off
	s_and_saveexec_b32 s18, s4
	s_cbranch_execz .LBB3_36
; %bb.109:                              ;   in Loop: Header=BB3_37 Depth=1
	s_clause 0x2
	global_load_dwordx2 v[2:3], v6, s[6:7] offset:40
	global_load_dwordx2 v[15:16], v6, s[6:7] offset:24 glc dlc
	global_load_dwordx2 v[11:12], v6, s[6:7]
	s_waitcnt vmcnt(2)
	v_readfirstlane_b32 s22, v2
	v_readfirstlane_b32 s23, v3
	s_add_u32 s19, s22, 1
	s_addc_u32 s20, s23, 0
	s_add_u32 s4, s19, s16
	s_addc_u32 s5, s20, s17
	s_cmp_eq_u64 s[4:5], 0
	s_cselect_b32 s5, s20, s5
	s_cselect_b32 s4, s19, s4
	v_mov_b32_e32 v14, s5
	s_and_b64 s[16:17], s[4:5], s[22:23]
	v_mov_b32_e32 v13, s4
	s_mul_i32 s17, s17, 24
	s_mul_hi_u32 s19, s16, 24
	s_mul_i32 s16, s16, 24
	s_add_i32 s19, s19, s17
	s_waitcnt vmcnt(0)
	v_add_co_u32 v2, vcc_lo, v11, s16
	v_add_co_ci_u32_e64 v3, null, s19, v12, vcc_lo
	global_store_dwordx2 v[2:3], v[15:16], off
	s_waitcnt_vscnt null, 0x0
	global_atomic_cmpswap_x2 v[13:14], v6, v[13:16], s[6:7] offset:24 glc
	s_waitcnt vmcnt(0)
	v_cmp_ne_u64_e32 vcc_lo, v[13:14], v[15:16]
	s_and_b32 exec_lo, exec_lo, vcc_lo
	s_cbranch_execz .LBB3_36
; %bb.110:                              ;   in Loop: Header=BB3_37 Depth=1
	s_mov_b32 s16, 0
.LBB3_111:                              ;   Parent Loop BB3_37 Depth=1
                                        ; =>  This Inner Loop Header: Depth=2
	v_mov_b32_e32 v11, s4
	v_mov_b32_e32 v12, s5
	s_sleep 1
	global_store_dwordx2 v[2:3], v[13:14], off
	s_waitcnt_vscnt null, 0x0
	global_atomic_cmpswap_x2 v[11:12], v6, v[11:14], s[6:7] offset:24 glc
	s_waitcnt vmcnt(0)
	v_cmp_eq_u64_e32 vcc_lo, v[11:12], v[13:14]
	v_mov_b32_e32 v14, v12
	v_mov_b32_e32 v13, v11
	s_or_b32 s16, vcc_lo, s16
	s_andn2_b32 exec_lo, exec_lo, s16
	s_cbranch_execnz .LBB3_111
	s_branch .LBB3_36
.LBB3_112:
	v_mov_b32_e32 v52, v4
	s_branch .LBB3_141
.LBB3_113:
	v_mov_b32_e32 v52, v4
	s_cbranch_execz .LBB3_141
; %bb.114:
	v_readfirstlane_b32 s4, v30
	s_waitcnt vmcnt(0)
	v_mov_b32_e32 v8, 0
	v_mov_b32_e32 v9, 0
	v_cmp_eq_u32_e64 s4, s4, v30
	s_and_saveexec_b32 s5, s4
	s_cbranch_execz .LBB3_120
; %bb.115:
	v_mov_b32_e32 v2, 0
	s_mov_b32 s10, exec_lo
	global_load_dwordx2 v[5:6], v2, s[6:7] offset:24 glc dlc
	s_waitcnt vmcnt(0)
	buffer_gl1_inv
	buffer_gl0_inv
	s_clause 0x1
	global_load_dwordx2 v[3:4], v2, s[6:7] offset:40
	global_load_dwordx2 v[7:8], v2, s[6:7]
	s_waitcnt vmcnt(1)
	v_and_b32_e32 v4, v4, v6
	v_and_b32_e32 v3, v3, v5
	v_mul_lo_u32 v4, v4, 24
	v_mul_hi_u32 v9, v3, 24
	v_mul_lo_u32 v3, v3, 24
	v_add_nc_u32_e32 v4, v9, v4
	s_waitcnt vmcnt(0)
	v_add_co_u32 v3, vcc_lo, v7, v3
	v_add_co_ci_u32_e64 v4, null, v8, v4, vcc_lo
	global_load_dwordx2 v[3:4], v[3:4], off glc dlc
	s_waitcnt vmcnt(0)
	global_atomic_cmpswap_x2 v[8:9], v2, v[3:6], s[6:7] offset:24 glc
	s_waitcnt vmcnt(0)
	buffer_gl1_inv
	buffer_gl0_inv
	v_cmpx_ne_u64_e64 v[8:9], v[5:6]
	s_cbranch_execz .LBB3_119
; %bb.116:
	s_mov_b32 s11, 0
	.p2align	6
.LBB3_117:                              ; =>This Inner Loop Header: Depth=1
	s_sleep 1
	s_clause 0x1
	global_load_dwordx2 v[3:4], v2, s[6:7] offset:40
	global_load_dwordx2 v[10:11], v2, s[6:7]
	v_mov_b32_e32 v5, v8
	v_mov_b32_e32 v6, v9
	s_waitcnt vmcnt(1)
	v_and_b32_e32 v3, v3, v5
	v_and_b32_e32 v4, v4, v6
	s_waitcnt vmcnt(0)
	v_mad_u64_u32 v[7:8], null, v3, 24, v[10:11]
	v_mov_b32_e32 v3, v8
	v_mad_u64_u32 v[3:4], null, v4, 24, v[3:4]
	v_mov_b32_e32 v8, v3
	global_load_dwordx2 v[3:4], v[7:8], off glc dlc
	s_waitcnt vmcnt(0)
	global_atomic_cmpswap_x2 v[8:9], v2, v[3:6], s[6:7] offset:24 glc
	s_waitcnt vmcnt(0)
	buffer_gl1_inv
	buffer_gl0_inv
	v_cmp_eq_u64_e32 vcc_lo, v[8:9], v[5:6]
	s_or_b32 s11, vcc_lo, s11
	s_andn2_b32 exec_lo, exec_lo, s11
	s_cbranch_execnz .LBB3_117
; %bb.118:
	s_or_b32 exec_lo, exec_lo, s11
.LBB3_119:
	s_or_b32 exec_lo, exec_lo, s10
.LBB3_120:
	s_or_b32 exec_lo, exec_lo, s5
	v_mov_b32_e32 v2, 0
	v_readfirstlane_b32 s11, v9
	v_readfirstlane_b32 s10, v8
	s_mov_b32 s5, exec_lo
	s_clause 0x1
	global_load_dwordx2 v[10:11], v2, s[6:7] offset:40
	global_load_dwordx4 v[4:7], v2, s[6:7]
	s_waitcnt vmcnt(1)
	v_readfirstlane_b32 s12, v10
	v_readfirstlane_b32 s13, v11
	s_and_b64 s[12:13], s[12:13], s[10:11]
	s_mul_i32 s14, s13, 24
	s_mul_hi_u32 s15, s12, 24
	s_mul_i32 s16, s12, 24
	s_add_i32 s15, s15, s14
	s_waitcnt vmcnt(0)
	v_add_co_u32 v8, vcc_lo, v4, s16
	v_add_co_ci_u32_e64 v9, null, s15, v5, vcc_lo
	s_and_saveexec_b32 s14, s4
	s_cbranch_execz .LBB3_122
; %bb.121:
	v_mov_b32_e32 v10, s5
	v_mov_b32_e32 v11, v2
	;; [unrolled: 1-line block ×4, first 2 shown]
	global_store_dwordx4 v[8:9], v[10:13], off offset:8
.LBB3_122:
	s_or_b32 exec_lo, exec_lo, s14
	s_lshl_b64 s[12:13], s[12:13], 12
	v_and_or_b32 v0, 0xffffff1d, v0, 34
	v_add_co_u32 v6, vcc_lo, v6, s12
	v_add_co_ci_u32_e64 v7, null, s13, v7, vcc_lo
	s_mov_b32 s12, 0
	v_mov_b32_e32 v3, v2
	s_mov_b32 s13, s12
	s_mov_b32 s14, s12
	;; [unrolled: 1-line block ×3, first 2 shown]
	v_readfirstlane_b32 s16, v6
	v_readfirstlane_b32 s17, v7
	v_mov_b32_e32 v10, s12
	v_mov_b32_e32 v11, s13
	;; [unrolled: 1-line block ×4, first 2 shown]
	global_store_dwordx4 v29, v[0:3], s[16:17]
	global_store_dwordx4 v29, v[10:13], s[16:17] offset:16
	global_store_dwordx4 v29, v[10:13], s[16:17] offset:32
	;; [unrolled: 1-line block ×3, first 2 shown]
	s_and_saveexec_b32 s5, s4
	s_cbranch_execz .LBB3_130
; %bb.123:
	v_mov_b32_e32 v6, 0
	v_mov_b32_e32 v10, s10
	;; [unrolled: 1-line block ×3, first 2 shown]
	s_clause 0x1
	global_load_dwordx2 v[12:13], v6, s[6:7] offset:32 glc dlc
	global_load_dwordx2 v[0:1], v6, s[6:7] offset:40
	s_waitcnt vmcnt(0)
	v_readfirstlane_b32 s12, v0
	v_readfirstlane_b32 s13, v1
	s_and_b64 s[12:13], s[12:13], s[10:11]
	s_mul_i32 s13, s13, 24
	s_mul_hi_u32 s14, s12, 24
	s_mul_i32 s12, s12, 24
	s_add_i32 s14, s14, s13
	v_add_co_u32 v4, vcc_lo, v4, s12
	v_add_co_ci_u32_e64 v5, null, s14, v5, vcc_lo
	s_mov_b32 s12, exec_lo
	global_store_dwordx2 v[4:5], v[12:13], off
	s_waitcnt_vscnt null, 0x0
	global_atomic_cmpswap_x2 v[2:3], v6, v[10:13], s[6:7] offset:32 glc
	s_waitcnt vmcnt(0)
	v_cmpx_ne_u64_e64 v[2:3], v[12:13]
	s_cbranch_execz .LBB3_126
; %bb.124:
	s_mov_b32 s13, 0
.LBB3_125:                              ; =>This Inner Loop Header: Depth=1
	v_mov_b32_e32 v0, s10
	v_mov_b32_e32 v1, s11
	s_sleep 1
	global_store_dwordx2 v[4:5], v[2:3], off
	s_waitcnt_vscnt null, 0x0
	global_atomic_cmpswap_x2 v[0:1], v6, v[0:3], s[6:7] offset:32 glc
	s_waitcnt vmcnt(0)
	v_cmp_eq_u64_e32 vcc_lo, v[0:1], v[2:3]
	v_mov_b32_e32 v3, v1
	v_mov_b32_e32 v2, v0
	s_or_b32 s13, vcc_lo, s13
	s_andn2_b32 exec_lo, exec_lo, s13
	s_cbranch_execnz .LBB3_125
.LBB3_126:
	s_or_b32 exec_lo, exec_lo, s12
	v_mov_b32_e32 v3, 0
	s_mov_b32 s13, exec_lo
	s_mov_b32 s12, exec_lo
	v_mbcnt_lo_u32_b32 v2, s13, 0
	global_load_dwordx2 v[0:1], v3, s[6:7] offset:16
	v_cmpx_eq_u32_e32 0, v2
	s_cbranch_execz .LBB3_128
; %bb.127:
	s_bcnt1_i32_b32 s13, s13
	v_mov_b32_e32 v2, s13
	s_waitcnt vmcnt(0)
	global_atomic_add_x2 v[0:1], v[2:3], off offset:8
.LBB3_128:
	s_or_b32 exec_lo, exec_lo, s12
	s_waitcnt vmcnt(0)
	global_load_dwordx2 v[2:3], v[0:1], off offset:16
	s_waitcnt vmcnt(0)
	v_cmp_eq_u64_e32 vcc_lo, 0, v[2:3]
	s_cbranch_vccnz .LBB3_130
; %bb.129:
	global_load_dword v0, v[0:1], off offset:24
	v_mov_b32_e32 v1, 0
	s_waitcnt vmcnt(0)
	v_readfirstlane_b32 s12, v0
	s_waitcnt_vscnt null, 0x0
	global_store_dwordx2 v[2:3], v[0:1], off
	s_and_b32 m0, s12, 0x7fffff
	s_sendmsg sendmsg(MSG_INTERRUPT)
.LBB3_130:
	s_or_b32 exec_lo, exec_lo, s5
	s_branch .LBB3_134
	.p2align	6
.LBB3_131:                              ;   in Loop: Header=BB3_134 Depth=1
	s_or_b32 exec_lo, exec_lo, s5
	v_readfirstlane_b32 s5, v0
	s_cmp_eq_u32 s5, 0
	s_cbranch_scc1 .LBB3_133
; %bb.132:                              ;   in Loop: Header=BB3_134 Depth=1
	s_sleep 1
	s_cbranch_execnz .LBB3_134
	s_branch .LBB3_136
	.p2align	6
.LBB3_133:
	s_branch .LBB3_136
.LBB3_134:                              ; =>This Inner Loop Header: Depth=1
	v_mov_b32_e32 v0, 1
	s_and_saveexec_b32 s5, s4
	s_cbranch_execz .LBB3_131
; %bb.135:                              ;   in Loop: Header=BB3_134 Depth=1
	global_load_dword v0, v[8:9], off offset:20 glc dlc
	s_waitcnt vmcnt(0)
	buffer_gl1_inv
	buffer_gl0_inv
	v_and_b32_e32 v0, 1, v0
	s_branch .LBB3_131
.LBB3_136:
	s_and_saveexec_b32 s12, s4
	s_cbranch_execz .LBB3_140
; %bb.137:
	v_mov_b32_e32 v6, 0
	s_clause 0x2
	global_load_dwordx2 v[0:1], v6, s[6:7] offset:40
	global_load_dwordx2 v[9:10], v6, s[6:7] offset:24 glc dlc
	global_load_dwordx2 v[2:3], v6, s[6:7]
	s_waitcnt vmcnt(2)
	v_readfirstlane_b32 s14, v0
	v_readfirstlane_b32 s15, v1
	s_add_u32 s13, s14, 1
	s_addc_u32 s16, s15, 0
	s_add_u32 s4, s13, s10
	s_addc_u32 s5, s16, s11
	s_cmp_eq_u64 s[4:5], 0
	s_cselect_b32 s5, s16, s5
	s_cselect_b32 s4, s13, s4
	v_mov_b32_e32 v8, s5
	s_and_b64 s[10:11], s[4:5], s[14:15]
	v_mov_b32_e32 v7, s4
	s_mul_i32 s11, s11, 24
	s_mul_hi_u32 s13, s10, 24
	s_mul_i32 s10, s10, 24
	s_add_i32 s13, s13, s11
	s_waitcnt vmcnt(0)
	v_add_co_u32 v4, vcc_lo, v2, s10
	v_add_co_ci_u32_e64 v5, null, s13, v3, vcc_lo
	global_store_dwordx2 v[4:5], v[9:10], off
	s_waitcnt_vscnt null, 0x0
	global_atomic_cmpswap_x2 v[2:3], v6, v[7:10], s[6:7] offset:24 glc
	s_waitcnt vmcnt(0)
	v_cmp_ne_u64_e32 vcc_lo, v[2:3], v[9:10]
	s_and_b32 exec_lo, exec_lo, vcc_lo
	s_cbranch_execz .LBB3_140
; %bb.138:
	s_mov_b32 s10, 0
.LBB3_139:                              ; =>This Inner Loop Header: Depth=1
	v_mov_b32_e32 v0, s4
	v_mov_b32_e32 v1, s5
	s_sleep 1
	global_store_dwordx2 v[4:5], v[2:3], off
	s_waitcnt_vscnt null, 0x0
	global_atomic_cmpswap_x2 v[0:1], v6, v[0:3], s[6:7] offset:24 glc
	s_waitcnt vmcnt(0)
	v_cmp_eq_u64_e32 vcc_lo, v[0:1], v[2:3]
	v_mov_b32_e32 v3, v1
	v_mov_b32_e32 v2, v0
	s_or_b32 s10, vcc_lo, s10
	s_andn2_b32 exec_lo, exec_lo, s10
	s_cbranch_execnz .LBB3_139
.LBB3_140:
	s_or_b32 exec_lo, exec_lo, s12
.LBB3_141:
	s_getpc_b64 s[4:5]
	s_add_u32 s4, s4, .str.29@rel32@lo+4
	s_addc_u32 s5, s5, .str.29@rel32@hi+12
	s_getpc_b64 s[6:7]
	s_add_u32 s6, s6, .str.19@rel32@lo+4
	s_addc_u32 s7, s7, .str.19@rel32@hi+12
	s_getpc_b64 s[10:11]
	s_add_u32 s10, s10, __PRETTY_FUNCTION__._ZN7VecsMemIjLi8192EE5fetchEi@rel32@lo+4
	s_addc_u32 s11, s11, __PRETTY_FUNCTION__._ZN7VecsMemIjLi8192EE5fetchEi@rel32@hi+12
	s_waitcnt vmcnt(0)
	v_mov_b32_e32 v0, s4
	v_mov_b32_e32 v1, s5
	;; [unrolled: 1-line block ×7, first 2 shown]
	s_getpc_b64 s[12:13]
	s_add_u32 s12, s12, __assert_fail@rel32@lo+4
	s_addc_u32 s13, s13, __assert_fail@rel32@hi+12
	s_mov_b64 s[22:23], s[8:9]
	s_swappc_b64 s[30:31], s[12:13]
	v_mov_b32_e32 v4, v52
	s_mov_b64 s[8:9], s[22:23]
	s_mov_b32 s4, exec_lo
.LBB3_142:
	s_or_b32 exec_lo, exec_lo, s25
	s_and_b32 s64, s4, exec_lo
	s_orn2_b32 s4, s24, exec_lo
	s_or_b32 exec_lo, exec_lo, s21
	s_and_saveexec_b32 s65, s4
	s_cbranch_execz .LBB3_2
.LBB3_143:
	s_mov_b32 s21, s64
	s_mov_b32 s4, exec_lo
	v_cmpx_ne_u64_e32 0, v[41:42]
	s_xor_b32 s66, exec_lo, s4
	s_cbranch_execz .LBB3_645
; %bb.144:
	v_mov_b32_e32 v1, 0
	v_mov_b32_e32 v0, v73
	s_mov_b32 s5, 0
                                        ; implicit-def: $sgpr4
                                        ; implicit-def: $sgpr7
                                        ; implicit-def: $sgpr6
	s_inst_prefetch 0x1
	s_branch .LBB3_146
	.p2align	6
.LBB3_145:                              ;   in Loop: Header=BB3_146 Depth=1
	s_or_b32 exec_lo, exec_lo, s10
	s_xor_b32 s10, s6, -1
	s_and_b32 s11, exec_lo, s7
	s_or_b32 s5, s11, s5
	s_andn2_b32 s4, s4, exec_lo
	s_and_b32 s10, s10, exec_lo
	s_or_b32 s4, s4, s10
	s_andn2_b32 exec_lo, exec_lo, s5
	s_cbranch_execz .LBB3_148
.LBB3_146:                              ; =>This Inner Loop Header: Depth=1
	s_or_b32 s6, s6, exec_lo
	s_or_b32 s7, s7, exec_lo
	s_mov_b32 s10, exec_lo
	v_cmpx_lt_i32_e32 0, v0
	s_cbranch_execz .LBB3_145
; %bb.147:                              ;   in Loop: Header=BB3_146 Depth=1
	v_add_nc_u32_e32 v0, -1, v0
	s_andn2_b32 s7, s7, exec_lo
	s_andn2_b32 s6, s6, exec_lo
	v_lshlrev_b64 v[2:3], 2, v[0:1]
	v_add_co_u32 v2, vcc_lo, v58, v2
	v_add_co_ci_u32_e64 v3, null, v59, v3, vcc_lo
	flat_load_dword v2, v[2:3]
	s_waitcnt vmcnt(0) lgkmcnt(0)
	v_cmp_ne_u32_e32 vcc_lo, 0, v2
	s_and_b32 s11, vcc_lo, exec_lo
	s_or_b32 s7, s7, s11
	s_branch .LBB3_145
.LBB3_148:
	s_inst_prefetch 0x2
	s_or_b32 exec_lo, exec_lo, s5
	s_mov_b32 s6, 0
	s_mov_b32 s5, s64
	s_and_saveexec_b32 s7, s4
	s_xor_b32 s67, exec_lo, s7
	s_cbranch_execz .LBB3_639
; %bb.149:
	v_mov_b32_e32 v1, 0
	v_mov_b32_e32 v0, v73
	s_mov_b32 s5, 0
                                        ; implicit-def: $sgpr4
                                        ; implicit-def: $sgpr7
                                        ; implicit-def: $sgpr6
	s_inst_prefetch 0x1
	s_branch .LBB3_151
	.p2align	6
.LBB3_150:                              ;   in Loop: Header=BB3_151 Depth=1
	s_or_b32 exec_lo, exec_lo, s10
	s_xor_b32 s10, s6, -1
	s_and_b32 s11, exec_lo, s7
	s_or_b32 s5, s11, s5
	s_andn2_b32 s4, s4, exec_lo
	s_and_b32 s10, s10, exec_lo
	s_or_b32 s4, s4, s10
	s_andn2_b32 exec_lo, exec_lo, s5
	s_cbranch_execz .LBB3_153
.LBB3_151:                              ; =>This Inner Loop Header: Depth=1
	s_or_b32 s6, s6, exec_lo
	s_or_b32 s7, s7, exec_lo
	s_mov_b32 s10, exec_lo
	v_cmpx_lt_i32_e32 0, v0
	s_cbranch_execz .LBB3_150
; %bb.152:                              ;   in Loop: Header=BB3_151 Depth=1
	v_add_nc_u32_e32 v0, -1, v0
	s_andn2_b32 s7, s7, exec_lo
	s_andn2_b32 s6, s6, exec_lo
	v_lshlrev_b64 v[2:3], 2, v[0:1]
	v_add_co_u32 v2, vcc_lo, v56, v2
	v_add_co_ci_u32_e64 v3, null, v57, v3, vcc_lo
	flat_load_dword v2, v[2:3]
	s_waitcnt vmcnt(0) lgkmcnt(0)
	v_cmp_ne_u32_e32 vcc_lo, -1, v2
	s_and_b32 s11, vcc_lo, exec_lo
	s_or_b32 s7, s7, s11
	s_branch .LBB3_150
.LBB3_153:
	s_inst_prefetch 0x2
	s_or_b32 exec_lo, exec_lo, s5
	s_mov_b32 s21, 0
	s_mov_b32 s24, s64
	s_and_saveexec_b32 s5, s4
	s_xor_b32 s68, exec_lo, s5
	s_cbranch_execz .LBB3_495
; %bb.154:
	s_mov_b32 s4, -1
	s_mov_b32 s6, exec_lo
                                        ; implicit-def: $sgpr69
                                        ; implicit-def: $vgpr52
	v_cmpx_lt_i32_e32 0, v4
	s_cbranch_execnz .LBB3_157
; %bb.155:
	s_or_b32 exec_lo, exec_lo, s6
	s_mov_b32 s70, s64
	s_and_saveexec_b32 s24, s4
	s_cbranch_execnz .LBB3_290
.LBB3_156:
	s_or_b32 exec_lo, exec_lo, s24
	s_mov_b32 s4, 0
	s_and_saveexec_b32 s71, s21
	s_cbranch_execnz .LBB3_291
	s_branch .LBB3_494
.LBB3_157:
	v_cmp_lt_i32_e64 s69, 0, v73
	s_mov_b32 s7, 0
                                        ; implicit-def: $sgpr10
	s_branch .LBB3_160
.LBB3_158:                              ;   in Loop: Header=BB3_160 Depth=1
	s_or_b32 exec_lo, exec_lo, s12
	s_orn2_b32 s12, s5, exec_lo
	s_orn2_b32 s4, s4, exec_lo
.LBB3_159:                              ;   in Loop: Header=BB3_160 Depth=1
	s_or_b32 exec_lo, exec_lo, s11
	s_xor_b32 s5, s12, -1
	s_and_b32 s4, exec_lo, s4
	v_add_nc_u32_e32 v4, -1, v4
	s_or_b32 s7, s4, s7
	s_andn2_b32 s4, s10, exec_lo
	s_and_b32 s5, s5, exec_lo
	s_or_b32 s10, s4, s5
	s_andn2_b32 exec_lo, exec_lo, s7
	s_cbranch_execz .LBB3_289
.LBB3_160:                              ; =>This Loop Header: Depth=1
                                        ;     Child Loop BB3_167 Depth 2
                                        ;       Child Loop BB3_170 Depth 3
                                        ;     Child Loop BB3_181 Depth 2
                                        ;     Child Loop BB3_190 Depth 2
                                        ;     Child Loop BB3_199 Depth 2
                                        ;     Child Loop BB3_209 Depth 2
                                        ;     Child Loop BB3_217 Depth 2
                                        ;     Child Loop BB3_233 Depth 2
                                        ;     Child Loop BB3_242 Depth 2
                                        ;     Child Loop BB3_251 Depth 2
                                        ;     Child Loop BB3_260 Depth 2
                                        ;     Child Loop BB3_270 Depth 2
                                        ;       Child Loop BB3_273 Depth 3
                                        ;     Child Loop BB3_283 Depth 2
	s_mov_b32 s5, 0
                                        ; implicit-def: $vgpr52
	s_mov_b32 s4, exec_lo
	v_cmpx_lt_i32_e32 2, v4
	s_xor_b32 s11, exec_lo, s4
	s_cbranch_execz .LBB3_204
; %bb.161:                              ;   in Loop: Header=BB3_160 Depth=1
                                        ; implicit-def: $vgpr52
	s_mov_b32 s4, exec_lo
	v_cmpx_lt_i32_e32 3, v4
	s_xor_b32 s12, exec_lo, s4
	s_cbranch_execz .LBB3_195
; %bb.162:                              ;   in Loop: Header=BB3_160 Depth=1
	;; [unrolled: 6-line block ×3, first 2 shown]
	s_mov_b32 s4, exec_lo
	v_cmpx_ne_u32_e32 5, v4
	s_xor_b32 s14, exec_lo, s4
	s_cbranch_execz .LBB3_177
; %bb.164:                              ;   in Loop: Header=BB3_160 Depth=1
	s_mov_b32 s4, -1
	s_and_saveexec_b32 s15, s69
	s_cbranch_execz .LBB3_176
; %bb.165:                              ;   in Loop: Header=BB3_160 Depth=1
	v_add_nc_u32_e32 v5, -6, v4
	v_mov_b32_e32 v7, v58
	v_mov_b32_e32 v8, v59
	s_mov_b32 s16, 0
                                        ; implicit-def: $sgpr17
	v_lshlrev_b32_e64 v2, v5, 1
	v_lshlrev_b32_e64 v0, v5, 2
	v_cmp_ne_u32_e32 vcc_lo, 31, v5
	v_ashrrev_i32_e32 v3, 31, v2
	v_ashrrev_i32_e32 v1, 31, v0
	v_max_i32_e32 v11, 1, v2
	v_lshlrev_b64 v[2:3], 2, v[2:3]
	v_lshlrev_b64 v[5:6], 2, v[0:1]
	v_mov_b32_e32 v1, 0
	s_branch .LBB3_167
.LBB3_166:                              ;   in Loop: Header=BB3_167 Depth=2
	s_or_b32 exec_lo, exec_lo, s19
	s_xor_b32 s4, s5, -1
	s_and_b32 s5, exec_lo, s18
	s_or_b32 s16, s5, s16
	s_andn2_b32 s5, s17, exec_lo
	s_and_b32 s4, s4, exec_lo
	s_or_b32 s17, s5, s4
	s_andn2_b32 exec_lo, exec_lo, s16
	s_cbranch_execz .LBB3_175
.LBB3_167:                              ;   Parent Loop BB3_160 Depth=1
                                        ; =>  This Loop Header: Depth=2
                                        ;       Child Loop BB3_170 Depth 3
	s_mov_b32 s18, -1
	s_mov_b32 s4, -1
	s_and_saveexec_b32 s19, vcc_lo
	s_cbranch_execz .LBB3_173
; %bb.168:                              ;   in Loop: Header=BB3_167 Depth=2
	v_mov_b32_e32 v10, v8
	v_mov_b32_e32 v9, v7
	;; [unrolled: 1-line block ×3, first 2 shown]
	s_mov_b32 s20, 0
                                        ; implicit-def: $sgpr21
                                        ; implicit-def: $sgpr23
                                        ; implicit-def: $sgpr22
	s_inst_prefetch 0x1
	s_branch .LBB3_170
	.p2align	6
.LBB3_169:                              ;   in Loop: Header=BB3_170 Depth=3
	s_or_b32 exec_lo, exec_lo, s24
	s_xor_b32 s4, s22, -1
	s_and_b32 s5, exec_lo, s23
	s_or_b32 s20, s5, s20
	s_andn2_b32 s5, s21, exec_lo
	s_and_b32 s4, s4, exec_lo
	s_or_b32 s21, s5, s4
	s_andn2_b32 exec_lo, exec_lo, s20
	s_cbranch_execz .LBB3_172
.LBB3_170:                              ;   Parent Loop BB3_160 Depth=1
                                        ;     Parent Loop BB3_167 Depth=2
                                        ; =>    This Inner Loop Header: Depth=3
	v_add_co_u32 v13, s4, v9, v2
	v_add_co_ci_u32_e64 v14, null, v10, v3, s4
	s_or_b32 s22, s22, exec_lo
	s_or_b32 s23, s23, exec_lo
	s_clause 0x1
	flat_load_dword v15, v[9:10]
	flat_load_dword v13, v[13:14]
	s_mov_b32 s24, exec_lo
	s_waitcnt vmcnt(0) lgkmcnt(0)
	v_cmpx_eq_u32_e64 v15, v13
	s_cbranch_execz .LBB3_169
; %bb.171:                              ;   in Loop: Header=BB3_170 Depth=3
	v_add_nc_u32_e32 v12, -1, v12
	v_add_co_u32 v9, s5, v9, 4
	v_add_co_ci_u32_e64 v10, null, 0, v10, s5
	v_cmp_eq_u32_e64 s4, 0, v12
	s_andn2_b32 s5, s23, exec_lo
	s_andn2_b32 s22, s22, exec_lo
	s_and_b32 s4, s4, exec_lo
	s_or_b32 s23, s5, s4
	s_branch .LBB3_169
.LBB3_172:                              ;   in Loop: Header=BB3_167 Depth=2
	s_inst_prefetch 0x2
	s_or_b32 exec_lo, exec_lo, s20
	s_orn2_b32 s4, s21, exec_lo
.LBB3_173:                              ;   in Loop: Header=BB3_167 Depth=2
	s_or_b32 exec_lo, exec_lo, s19
	s_mov_b32 s5, -1
	s_and_saveexec_b32 s19, s4
	s_cbranch_execz .LBB3_166
; %bb.174:                              ;   in Loop: Header=BB3_167 Depth=2
	v_add_nc_u32_e32 v1, v1, v0
	v_add_co_u32 v7, s5, v7, v5
	v_add_co_ci_u32_e64 v8, null, v8, v6, s5
	v_cmp_ge_i32_e64 s4, v1, v73
	s_xor_b32 s5, exec_lo, -1
	s_orn2_b32 s18, s4, exec_lo
	s_branch .LBB3_166
.LBB3_175:                              ;   in Loop: Header=BB3_160 Depth=1
	s_or_b32 exec_lo, exec_lo, s16
	s_orn2_b32 s4, s17, exec_lo
.LBB3_176:                              ;   in Loop: Header=BB3_160 Depth=1
	s_or_b32 exec_lo, exec_lo, s15
	s_and_b32 s5, s4, exec_lo
.LBB3_177:                              ;   in Loop: Header=BB3_160 Depth=1
	s_or_saveexec_b32 s14, s14
	v_mov_b32_e32 v52, v4
	s_xor_b32 exec_lo, exec_lo, s14
	s_cbranch_execz .LBB3_185
; %bb.178:                              ;   in Loop: Header=BB3_160 Depth=1
	s_mov_b32 s4, -1
	s_and_saveexec_b32 s15, s69
	s_cbranch_execz .LBB3_184
; %bb.179:                              ;   in Loop: Header=BB3_160 Depth=1
	v_mov_b32_e32 v0, v58
	v_mov_b32_e32 v1, v59
	;; [unrolled: 1-line block ×3, first 2 shown]
	s_mov_b32 s16, 0
                                        ; implicit-def: $sgpr17
                                        ; implicit-def: $sgpr19
                                        ; implicit-def: $sgpr18
	s_inst_prefetch 0x1
	s_branch .LBB3_181
	.p2align	6
.LBB3_180:                              ;   in Loop: Header=BB3_181 Depth=2
	s_or_b32 exec_lo, exec_lo, s20
	s_xor_b32 s4, s18, -1
	s_and_b32 s20, exec_lo, s19
	s_or_b32 s16, s20, s16
	s_andn2_b32 s17, s17, exec_lo
	s_and_b32 s4, s4, exec_lo
	s_or_b32 s17, s17, s4
	s_andn2_b32 exec_lo, exec_lo, s16
	s_cbranch_execz .LBB3_183
.LBB3_181:                              ;   Parent Loop BB3_160 Depth=1
                                        ; =>  This Inner Loop Header: Depth=2
	flat_load_dword v3, v[0:1]
	s_or_b32 s18, s18, exec_lo
	s_or_b32 s19, s19, exec_lo
	s_waitcnt vmcnt(0) lgkmcnt(0)
	v_cmp_eq_u32_sdwa s4, v3, v3 src0_sel:WORD_0 src1_sel:WORD_1
	s_and_saveexec_b32 s20, s4
	s_cbranch_execz .LBB3_180
; %bb.182:                              ;   in Loop: Header=BB3_181 Depth=2
	v_add_nc_u32_e32 v2, -1, v2
	v_add_co_u32 v0, s4, v0, 4
	v_add_co_ci_u32_e64 v1, null, 0, v1, s4
	v_cmp_eq_u32_e32 vcc_lo, 0, v2
	s_andn2_b32 s4, s19, exec_lo
	s_andn2_b32 s18, s18, exec_lo
	s_and_b32 s19, vcc_lo, exec_lo
	s_or_b32 s19, s4, s19
	s_branch .LBB3_180
.LBB3_183:                              ;   in Loop: Header=BB3_160 Depth=1
	s_inst_prefetch 0x2
	s_or_b32 exec_lo, exec_lo, s16
	s_orn2_b32 s4, s17, exec_lo
.LBB3_184:                              ;   in Loop: Header=BB3_160 Depth=1
	s_or_b32 exec_lo, exec_lo, s15
	v_mov_b32_e32 v52, 5
	s_andn2_b32 s5, s5, exec_lo
	s_and_b32 s4, s4, exec_lo
	s_or_b32 s5, s5, s4
.LBB3_185:                              ;   in Loop: Header=BB3_160 Depth=1
	s_or_b32 exec_lo, exec_lo, s14
	s_and_b32 s5, s5, exec_lo
.LBB3_186:                              ;   in Loop: Header=BB3_160 Depth=1
	s_andn2_saveexec_b32 s13, s13
	s_cbranch_execz .LBB3_194
; %bb.187:                              ;   in Loop: Header=BB3_160 Depth=1
	s_mov_b32 s4, -1
	s_and_saveexec_b32 s14, s69
	s_cbranch_execz .LBB3_193
; %bb.188:                              ;   in Loop: Header=BB3_160 Depth=1
	v_mov_b32_e32 v0, v58
	v_mov_b32_e32 v1, v59
	;; [unrolled: 1-line block ×3, first 2 shown]
	s_mov_b32 s15, 0
                                        ; implicit-def: $sgpr16
                                        ; implicit-def: $sgpr18
                                        ; implicit-def: $sgpr17
	s_inst_prefetch 0x1
	s_branch .LBB3_190
	.p2align	6
.LBB3_189:                              ;   in Loop: Header=BB3_190 Depth=2
	s_or_b32 exec_lo, exec_lo, s19
	s_xor_b32 s4, s17, -1
	s_and_b32 s19, exec_lo, s18
	s_or_b32 s15, s19, s15
	s_andn2_b32 s16, s16, exec_lo
	s_and_b32 s4, s4, exec_lo
	s_or_b32 s16, s16, s4
	s_andn2_b32 exec_lo, exec_lo, s15
	s_cbranch_execz .LBB3_192
.LBB3_190:                              ;   Parent Loop BB3_160 Depth=1
                                        ; =>  This Inner Loop Header: Depth=2
	flat_load_dword v3, v[0:1]
	s_or_b32 s17, s17, exec_lo
	s_or_b32 s18, s18, exec_lo
	s_mov_b32 s19, exec_lo
	s_waitcnt vmcnt(0) lgkmcnt(0)
	v_lshrrev_b32_e32 v5, 8, v3
	v_xor_b32_e32 v3, v5, v3
	v_and_b32_e32 v3, 0xff00ff, v3
	v_cmpx_eq_u32_e32 0, v3
	s_cbranch_execz .LBB3_189
; %bb.191:                              ;   in Loop: Header=BB3_190 Depth=2
	v_add_nc_u32_e32 v2, -1, v2
	v_add_co_u32 v0, s4, v0, 4
	v_add_co_ci_u32_e64 v1, null, 0, v1, s4
	v_cmp_eq_u32_e32 vcc_lo, 0, v2
	s_andn2_b32 s4, s18, exec_lo
	s_andn2_b32 s17, s17, exec_lo
	s_and_b32 s18, vcc_lo, exec_lo
	s_or_b32 s18, s4, s18
	s_branch .LBB3_189
.LBB3_192:                              ;   in Loop: Header=BB3_160 Depth=1
	s_inst_prefetch 0x2
	s_or_b32 exec_lo, exec_lo, s15
	s_orn2_b32 s4, s16, exec_lo
.LBB3_193:                              ;   in Loop: Header=BB3_160 Depth=1
	s_or_b32 exec_lo, exec_lo, s14
	v_mov_b32_e32 v52, 4
	s_andn2_b32 s5, s5, exec_lo
	s_and_b32 s4, s4, exec_lo
	s_or_b32 s5, s5, s4
.LBB3_194:                              ;   in Loop: Header=BB3_160 Depth=1
	s_or_b32 exec_lo, exec_lo, s13
	s_and_b32 s5, s5, exec_lo
.LBB3_195:                              ;   in Loop: Header=BB3_160 Depth=1
	s_andn2_saveexec_b32 s12, s12
	s_cbranch_execz .LBB3_203
; %bb.196:                              ;   in Loop: Header=BB3_160 Depth=1
	s_mov_b32 s4, -1
	s_and_saveexec_b32 s13, s69
	s_cbranch_execz .LBB3_202
; %bb.197:                              ;   in Loop: Header=BB3_160 Depth=1
	v_mov_b32_e32 v0, v58
	v_mov_b32_e32 v1, v59
	v_mov_b32_e32 v2, v73
	s_mov_b32 s14, 0
                                        ; implicit-def: $sgpr15
                                        ; implicit-def: $sgpr17
                                        ; implicit-def: $sgpr16
	s_inst_prefetch 0x1
	s_branch .LBB3_199
	.p2align	6
.LBB3_198:                              ;   in Loop: Header=BB3_199 Depth=2
	s_or_b32 exec_lo, exec_lo, s18
	s_xor_b32 s4, s16, -1
	s_and_b32 s18, exec_lo, s17
	s_or_b32 s14, s18, s14
	s_andn2_b32 s15, s15, exec_lo
	s_and_b32 s4, s4, exec_lo
	s_or_b32 s15, s15, s4
	s_andn2_b32 exec_lo, exec_lo, s14
	s_cbranch_execz .LBB3_201
.LBB3_199:                              ;   Parent Loop BB3_160 Depth=1
                                        ; =>  This Inner Loop Header: Depth=2
	flat_load_dword v3, v[0:1]
	s_or_b32 s16, s16, exec_lo
	s_or_b32 s17, s17, exec_lo
	s_mov_b32 s18, exec_lo
	s_waitcnt vmcnt(0) lgkmcnt(0)
	v_lshrrev_b32_e32 v5, 4, v3
	v_xor_b32_e32 v3, v5, v3
	v_and_b32_e32 v3, 0xf0f0f0f, v3
	v_cmpx_eq_u32_e32 0, v3
	s_cbranch_execz .LBB3_198
; %bb.200:                              ;   in Loop: Header=BB3_199 Depth=2
	v_add_nc_u32_e32 v2, -1, v2
	v_add_co_u32 v0, s4, v0, 4
	v_add_co_ci_u32_e64 v1, null, 0, v1, s4
	v_cmp_eq_u32_e32 vcc_lo, 0, v2
	s_andn2_b32 s4, s17, exec_lo
	s_andn2_b32 s16, s16, exec_lo
	s_and_b32 s17, vcc_lo, exec_lo
	s_or_b32 s17, s4, s17
	s_branch .LBB3_198
.LBB3_201:                              ;   in Loop: Header=BB3_160 Depth=1
	s_inst_prefetch 0x2
	s_or_b32 exec_lo, exec_lo, s14
	s_orn2_b32 s4, s15, exec_lo
.LBB3_202:                              ;   in Loop: Header=BB3_160 Depth=1
	s_or_b32 exec_lo, exec_lo, s13
	v_mov_b32_e32 v52, 3
	s_andn2_b32 s5, s5, exec_lo
	s_and_b32 s4, s4, exec_lo
	s_or_b32 s5, s5, s4
.LBB3_203:                              ;   in Loop: Header=BB3_160 Depth=1
	s_or_b32 exec_lo, exec_lo, s12
	s_and_b32 s5, s5, exec_lo
.LBB3_204:                              ;   in Loop: Header=BB3_160 Depth=1
	s_andn2_saveexec_b32 s11, s11
	s_cbranch_execz .LBB3_222
; %bb.205:                              ;   in Loop: Header=BB3_160 Depth=1
	s_mov_b32 s12, s5
	s_mov_b32 s4, exec_lo
	v_cmpx_lt_i32_e32 1, v4
	s_xor_b32 s13, exec_lo, s4
	s_cbranch_execz .LBB3_213
; %bb.206:                              ;   in Loop: Header=BB3_160 Depth=1
	s_mov_b32 s4, -1
	s_and_saveexec_b32 s12, s69
	s_cbranch_execz .LBB3_212
; %bb.207:                              ;   in Loop: Header=BB3_160 Depth=1
	v_mov_b32_e32 v0, v58
	v_mov_b32_e32 v1, v59
	;; [unrolled: 1-line block ×3, first 2 shown]
	s_mov_b32 s14, 0
                                        ; implicit-def: $sgpr15
                                        ; implicit-def: $sgpr17
                                        ; implicit-def: $sgpr16
	s_inst_prefetch 0x1
	s_branch .LBB3_209
	.p2align	6
.LBB3_208:                              ;   in Loop: Header=BB3_209 Depth=2
	s_or_b32 exec_lo, exec_lo, s18
	s_xor_b32 s4, s16, -1
	s_and_b32 s18, exec_lo, s17
	s_or_b32 s14, s18, s14
	s_andn2_b32 s15, s15, exec_lo
	s_and_b32 s4, s4, exec_lo
	s_or_b32 s15, s15, s4
	s_andn2_b32 exec_lo, exec_lo, s14
	s_cbranch_execz .LBB3_211
.LBB3_209:                              ;   Parent Loop BB3_160 Depth=1
                                        ; =>  This Inner Loop Header: Depth=2
	flat_load_dword v3, v[0:1]
	s_or_b32 s16, s16, exec_lo
	s_or_b32 s17, s17, exec_lo
	s_mov_b32 s18, exec_lo
	s_waitcnt vmcnt(0) lgkmcnt(0)
	v_lshrrev_b32_e32 v5, 2, v3
	v_xor_b32_e32 v3, v5, v3
	v_and_b32_e32 v3, 0x33333333, v3
	v_cmpx_eq_u32_e32 0, v3
	s_cbranch_execz .LBB3_208
; %bb.210:                              ;   in Loop: Header=BB3_209 Depth=2
	v_add_nc_u32_e32 v2, -1, v2
	v_add_co_u32 v0, s4, v0, 4
	v_add_co_ci_u32_e64 v1, null, 0, v1, s4
	v_cmp_eq_u32_e32 vcc_lo, 0, v2
	s_andn2_b32 s4, s17, exec_lo
	s_andn2_b32 s16, s16, exec_lo
	s_and_b32 s17, vcc_lo, exec_lo
	s_or_b32 s17, s4, s17
	s_branch .LBB3_208
.LBB3_211:                              ;   in Loop: Header=BB3_160 Depth=1
	s_inst_prefetch 0x2
	s_or_b32 exec_lo, exec_lo, s14
	s_orn2_b32 s4, s15, exec_lo
.LBB3_212:                              ;   in Loop: Header=BB3_160 Depth=1
	s_or_b32 exec_lo, exec_lo, s12
	s_andn2_b32 s12, s5, exec_lo
	s_and_b32 s4, s4, exec_lo
	s_or_b32 s12, s12, s4
.LBB3_213:                              ;   in Loop: Header=BB3_160 Depth=1
	s_or_saveexec_b32 s13, s13
	v_mov_b32_e32 v52, 2
	s_xor_b32 exec_lo, exec_lo, s13
	s_cbranch_execz .LBB3_221
; %bb.214:                              ;   in Loop: Header=BB3_160 Depth=1
	s_mov_b32 s4, -1
	s_and_saveexec_b32 s14, s69
	s_cbranch_execz .LBB3_220
; %bb.215:                              ;   in Loop: Header=BB3_160 Depth=1
	v_mov_b32_e32 v0, v58
	v_mov_b32_e32 v1, v59
	;; [unrolled: 1-line block ×3, first 2 shown]
	s_mov_b32 s15, 0
                                        ; implicit-def: $sgpr16
                                        ; implicit-def: $sgpr18
                                        ; implicit-def: $sgpr17
	s_inst_prefetch 0x1
	s_branch .LBB3_217
	.p2align	6
.LBB3_216:                              ;   in Loop: Header=BB3_217 Depth=2
	s_or_b32 exec_lo, exec_lo, s19
	s_xor_b32 s4, s17, -1
	s_and_b32 s19, exec_lo, s18
	s_or_b32 s15, s19, s15
	s_andn2_b32 s16, s16, exec_lo
	s_and_b32 s4, s4, exec_lo
	s_or_b32 s16, s16, s4
	s_andn2_b32 exec_lo, exec_lo, s15
	s_cbranch_execz .LBB3_219
.LBB3_217:                              ;   Parent Loop BB3_160 Depth=1
                                        ; =>  This Inner Loop Header: Depth=2
	flat_load_dword v3, v[0:1]
	s_or_b32 s17, s17, exec_lo
	s_or_b32 s18, s18, exec_lo
	s_mov_b32 s19, exec_lo
	s_waitcnt vmcnt(0) lgkmcnt(0)
	v_lshrrev_b32_e32 v5, 1, v3
	v_xor_b32_e32 v3, v5, v3
	v_and_b32_e32 v3, 0x55555555, v3
	v_cmpx_eq_u32_e32 0, v3
	s_cbranch_execz .LBB3_216
; %bb.218:                              ;   in Loop: Header=BB3_217 Depth=2
	v_add_nc_u32_e32 v2, -1, v2
	v_add_co_u32 v0, s4, v0, 4
	v_add_co_ci_u32_e64 v1, null, 0, v1, s4
	v_cmp_eq_u32_e32 vcc_lo, 0, v2
	s_andn2_b32 s4, s18, exec_lo
	s_andn2_b32 s17, s17, exec_lo
	s_and_b32 s18, vcc_lo, exec_lo
	s_or_b32 s18, s4, s18
	s_branch .LBB3_216
.LBB3_219:                              ;   in Loop: Header=BB3_160 Depth=1
	s_inst_prefetch 0x2
	s_or_b32 exec_lo, exec_lo, s15
	s_orn2_b32 s4, s16, exec_lo
.LBB3_220:                              ;   in Loop: Header=BB3_160 Depth=1
	s_or_b32 exec_lo, exec_lo, s14
	s_andn2_b32 s12, s12, exec_lo
	s_and_b32 s4, s4, exec_lo
	v_mov_b32_e32 v52, 1
	s_or_b32 s12, s12, s4
.LBB3_221:                              ;   in Loop: Header=BB3_160 Depth=1
	s_or_b32 exec_lo, exec_lo, s13
	s_andn2_b32 s4, s5, exec_lo
	s_and_b32 s5, s12, exec_lo
	s_or_b32 s5, s4, s5
.LBB3_222:                              ;   in Loop: Header=BB3_160 Depth=1
	s_or_b32 exec_lo, exec_lo, s11
	s_mov_b32 s4, -1
	s_mov_b32 s12, -1
	s_and_saveexec_b32 s11, s5
	s_cbranch_execz .LBB3_159
; %bb.223:                              ;   in Loop: Header=BB3_160 Depth=1
	s_mov_b32 s12, 0
	s_mov_b32 s15, 0
	;; [unrolled: 1-line block ×3, first 2 shown]
                                        ; implicit-def: $vgpr52
	s_mov_b32 s4, exec_lo
	v_cmpx_lt_i32_e32 2, v4
	s_xor_b32 s5, exec_lo, s4
	s_cbranch_execnz .LBB3_227
; %bb.224:                              ;   in Loop: Header=BB3_160 Depth=1
	s_andn2_saveexec_b32 s5, s5
	s_cbranch_execnz .LBB3_256
.LBB3_225:                              ;   in Loop: Header=BB3_160 Depth=1
	s_or_b32 exec_lo, exec_lo, s5
	s_and_saveexec_b32 s14, s15
	s_cbranch_execnz .LBB3_267
.LBB3_226:                              ;   in Loop: Header=BB3_160 Depth=1
	s_or_b32 exec_lo, exec_lo, s14
	s_and_saveexec_b32 s4, s12
	s_xor_b32 s5, exec_lo, s4
	s_cbranch_execnz .LBB3_280
	s_branch .LBB3_287
.LBB3_227:                              ;   in Loop: Header=BB3_160 Depth=1
	s_mov_b32 s14, 0
                                        ; implicit-def: $vgpr52
	s_mov_b32 s4, exec_lo
	v_cmpx_lt_i32_e32 3, v4
	s_xor_b32 s13, exec_lo, s4
	s_cbranch_execz .LBB3_247
; %bb.228:                              ;   in Loop: Header=BB3_160 Depth=1
	s_mov_b32 s4, exec_lo
	v_cmpx_lt_i32_e32 4, v4
	s_xor_b32 s16, exec_lo, s4
	s_cbranch_execz .LBB3_238
; %bb.229:                              ;   in Loop: Header=BB3_160 Depth=1
	s_mov_b32 s4, -1
	s_mov_b32 s14, exec_lo
	v_cmpx_eq_u32_e32 5, v4
	s_cbranch_execz .LBB3_237
; %bb.230:                              ;   in Loop: Header=BB3_160 Depth=1
	s_and_saveexec_b32 s15, s69
	s_cbranch_execz .LBB3_236
; %bb.231:                              ;   in Loop: Header=BB3_160 Depth=1
	v_mov_b32_e32 v0, v56
	v_mov_b32_e32 v1, v57
	;; [unrolled: 1-line block ×3, first 2 shown]
	s_mov_b32 s17, 0
                                        ; implicit-def: $sgpr18
                                        ; implicit-def: $sgpr20
                                        ; implicit-def: $sgpr19
	s_inst_prefetch 0x1
	s_branch .LBB3_233
	.p2align	6
.LBB3_232:                              ;   in Loop: Header=BB3_233 Depth=2
	s_or_b32 exec_lo, exec_lo, s21
	s_xor_b32 s4, s19, -1
	s_and_b32 s21, exec_lo, s20
	s_or_b32 s17, s21, s17
	s_andn2_b32 s18, s18, exec_lo
	s_and_b32 s4, s4, exec_lo
	s_or_b32 s18, s18, s4
	s_andn2_b32 exec_lo, exec_lo, s17
	s_cbranch_execz .LBB3_235
.LBB3_233:                              ;   Parent Loop BB3_160 Depth=1
                                        ; =>  This Inner Loop Header: Depth=2
	flat_load_dword v3, v[0:1]
	s_or_b32 s19, s19, exec_lo
	s_or_b32 s20, s20, exec_lo
	s_waitcnt vmcnt(0) lgkmcnt(0)
	v_cmp_eq_u32_sdwa s4, v3, v3 src0_sel:WORD_0 src1_sel:WORD_1
	s_and_saveexec_b32 s21, s4
	s_cbranch_execz .LBB3_232
; %bb.234:                              ;   in Loop: Header=BB3_233 Depth=2
	v_add_nc_u32_e32 v2, -1, v2
	v_add_co_u32 v0, s4, v0, 4
	v_add_co_ci_u32_e64 v1, null, 0, v1, s4
	v_cmp_eq_u32_e32 vcc_lo, 0, v2
	s_andn2_b32 s4, s20, exec_lo
	s_andn2_b32 s19, s19, exec_lo
	s_and_b32 s20, vcc_lo, exec_lo
	s_or_b32 s20, s4, s20
	s_branch .LBB3_232
.LBB3_235:                              ;   in Loop: Header=BB3_160 Depth=1
	s_inst_prefetch 0x2
	s_or_b32 exec_lo, exec_lo, s17
	s_orn2_b32 s4, s18, exec_lo
.LBB3_236:                              ;   in Loop: Header=BB3_160 Depth=1
	s_or_b32 exec_lo, exec_lo, s15
	s_and_b32 s15, s4, exec_lo
	s_xor_b32 s4, exec_lo, -1
.LBB3_237:                              ;   in Loop: Header=BB3_160 Depth=1
	s_or_b32 exec_lo, exec_lo, s14
	s_and_b32 s15, s15, exec_lo
	s_and_b32 s14, s4, exec_lo
.LBB3_238:                              ;   in Loop: Header=BB3_160 Depth=1
	s_or_saveexec_b32 s16, s16
	v_mov_b32_e32 v52, 5
	s_xor_b32 exec_lo, exec_lo, s16
	s_cbranch_execz .LBB3_246
; %bb.239:                              ;   in Loop: Header=BB3_160 Depth=1
	s_mov_b32 s4, -1
	s_and_saveexec_b32 s17, s69
	s_cbranch_execz .LBB3_245
; %bb.240:                              ;   in Loop: Header=BB3_160 Depth=1
	v_mov_b32_e32 v0, v56
	v_mov_b32_e32 v1, v57
	;; [unrolled: 1-line block ×3, first 2 shown]
	s_mov_b32 s18, 0
                                        ; implicit-def: $sgpr19
                                        ; implicit-def: $sgpr21
                                        ; implicit-def: $sgpr20
	s_inst_prefetch 0x1
	s_branch .LBB3_242
	.p2align	6
.LBB3_241:                              ;   in Loop: Header=BB3_242 Depth=2
	s_or_b32 exec_lo, exec_lo, s22
	s_xor_b32 s4, s20, -1
	s_and_b32 s22, exec_lo, s21
	s_or_b32 s18, s22, s18
	s_andn2_b32 s19, s19, exec_lo
	s_and_b32 s4, s4, exec_lo
	s_or_b32 s19, s19, s4
	s_andn2_b32 exec_lo, exec_lo, s18
	s_cbranch_execz .LBB3_244
.LBB3_242:                              ;   Parent Loop BB3_160 Depth=1
                                        ; =>  This Inner Loop Header: Depth=2
	flat_load_dword v3, v[0:1]
	s_or_b32 s20, s20, exec_lo
	s_or_b32 s21, s21, exec_lo
	s_mov_b32 s22, exec_lo
	s_waitcnt vmcnt(0) lgkmcnt(0)
	v_lshrrev_b32_e32 v5, 8, v3
	v_xor_b32_e32 v3, v5, v3
	v_and_b32_e32 v3, 0xff00ff, v3
	v_cmpx_eq_u32_e32 0, v3
	s_cbranch_execz .LBB3_241
; %bb.243:                              ;   in Loop: Header=BB3_242 Depth=2
	v_add_nc_u32_e32 v2, -1, v2
	v_add_co_u32 v0, s4, v0, 4
	v_add_co_ci_u32_e64 v1, null, 0, v1, s4
	v_cmp_eq_u32_e32 vcc_lo, 0, v2
	s_andn2_b32 s4, s21, exec_lo
	s_andn2_b32 s20, s20, exec_lo
	s_and_b32 s21, vcc_lo, exec_lo
	s_or_b32 s21, s4, s21
	s_branch .LBB3_241
.LBB3_244:                              ;   in Loop: Header=BB3_160 Depth=1
	s_inst_prefetch 0x2
	s_or_b32 exec_lo, exec_lo, s18
	s_orn2_b32 s4, s19, exec_lo
.LBB3_245:                              ;   in Loop: Header=BB3_160 Depth=1
	s_or_b32 exec_lo, exec_lo, s17
	v_mov_b32_e32 v52, 4
	s_andn2_b32 s15, s15, exec_lo
	s_and_b32 s4, s4, exec_lo
	s_or_b32 s15, s15, s4
.LBB3_246:                              ;   in Loop: Header=BB3_160 Depth=1
	s_or_b32 exec_lo, exec_lo, s16
	s_and_b32 s15, s15, exec_lo
	s_and_b32 s14, s14, exec_lo
.LBB3_247:                              ;   in Loop: Header=BB3_160 Depth=1
	s_andn2_saveexec_b32 s13, s13
	s_cbranch_execz .LBB3_255
; %bb.248:                              ;   in Loop: Header=BB3_160 Depth=1
	s_mov_b32 s4, -1
	s_and_saveexec_b32 s16, s69
	s_cbranch_execz .LBB3_254
; %bb.249:                              ;   in Loop: Header=BB3_160 Depth=1
	v_mov_b32_e32 v0, v56
	v_mov_b32_e32 v1, v57
	;; [unrolled: 1-line block ×3, first 2 shown]
	s_mov_b32 s17, 0
                                        ; implicit-def: $sgpr18
                                        ; implicit-def: $sgpr20
                                        ; implicit-def: $sgpr19
	s_inst_prefetch 0x1
	s_branch .LBB3_251
	.p2align	6
.LBB3_250:                              ;   in Loop: Header=BB3_251 Depth=2
	s_or_b32 exec_lo, exec_lo, s21
	s_xor_b32 s4, s19, -1
	s_and_b32 s21, exec_lo, s20
	s_or_b32 s17, s21, s17
	s_andn2_b32 s18, s18, exec_lo
	s_and_b32 s4, s4, exec_lo
	s_or_b32 s18, s18, s4
	s_andn2_b32 exec_lo, exec_lo, s17
	s_cbranch_execz .LBB3_253
.LBB3_251:                              ;   Parent Loop BB3_160 Depth=1
                                        ; =>  This Inner Loop Header: Depth=2
	flat_load_dword v3, v[0:1]
	s_or_b32 s19, s19, exec_lo
	s_or_b32 s20, s20, exec_lo
	s_mov_b32 s21, exec_lo
	s_waitcnt vmcnt(0) lgkmcnt(0)
	v_lshrrev_b32_e32 v5, 4, v3
	v_xor_b32_e32 v3, v5, v3
	v_and_b32_e32 v3, 0xf0f0f0f, v3
	v_cmpx_eq_u32_e32 0, v3
	s_cbranch_execz .LBB3_250
; %bb.252:                              ;   in Loop: Header=BB3_251 Depth=2
	v_add_nc_u32_e32 v2, -1, v2
	v_add_co_u32 v0, s4, v0, 4
	v_add_co_ci_u32_e64 v1, null, 0, v1, s4
	v_cmp_eq_u32_e32 vcc_lo, 0, v2
	s_andn2_b32 s4, s20, exec_lo
	s_andn2_b32 s19, s19, exec_lo
	s_and_b32 s20, vcc_lo, exec_lo
	s_or_b32 s20, s4, s20
	s_branch .LBB3_250
.LBB3_253:                              ;   in Loop: Header=BB3_160 Depth=1
	s_inst_prefetch 0x2
	s_or_b32 exec_lo, exec_lo, s17
	s_orn2_b32 s4, s18, exec_lo
.LBB3_254:                              ;   in Loop: Header=BB3_160 Depth=1
	s_or_b32 exec_lo, exec_lo, s16
	v_mov_b32_e32 v52, 3
	s_andn2_b32 s15, s15, exec_lo
	s_and_b32 s4, s4, exec_lo
	s_or_b32 s15, s15, s4
.LBB3_255:                              ;   in Loop: Header=BB3_160 Depth=1
	s_or_b32 exec_lo, exec_lo, s13
	s_and_b32 s13, s15, exec_lo
	s_and_b32 s15, s14, exec_lo
	s_andn2_saveexec_b32 s5, s5
	s_cbranch_execz .LBB3_225
.LBB3_256:                              ;   in Loop: Header=BB3_160 Depth=1
	s_mov_b32 s4, s13
	s_mov_b32 s12, exec_lo
	v_cmpx_lt_i32_e32 1, v4
	s_xor_b32 s12, exec_lo, s12
	s_cbranch_execz .LBB3_264
; %bb.257:                              ;   in Loop: Header=BB3_160 Depth=1
	s_mov_b32 s4, -1
	s_and_saveexec_b32 s14, s69
	s_cbranch_execz .LBB3_263
; %bb.258:                              ;   in Loop: Header=BB3_160 Depth=1
	v_mov_b32_e32 v0, v56
	v_mov_b32_e32 v1, v57
	;; [unrolled: 1-line block ×3, first 2 shown]
	s_mov_b32 s16, 0
                                        ; implicit-def: $sgpr17
                                        ; implicit-def: $sgpr19
                                        ; implicit-def: $sgpr18
	s_inst_prefetch 0x1
	s_branch .LBB3_260
	.p2align	6
.LBB3_259:                              ;   in Loop: Header=BB3_260 Depth=2
	s_or_b32 exec_lo, exec_lo, s20
	s_xor_b32 s4, s18, -1
	s_and_b32 s20, exec_lo, s19
	s_or_b32 s16, s20, s16
	s_andn2_b32 s17, s17, exec_lo
	s_and_b32 s4, s4, exec_lo
	s_or_b32 s17, s17, s4
	s_andn2_b32 exec_lo, exec_lo, s16
	s_cbranch_execz .LBB3_262
.LBB3_260:                              ;   Parent Loop BB3_160 Depth=1
                                        ; =>  This Inner Loop Header: Depth=2
	flat_load_dword v3, v[0:1]
	s_or_b32 s18, s18, exec_lo
	s_or_b32 s19, s19, exec_lo
	s_mov_b32 s20, exec_lo
	s_waitcnt vmcnt(0) lgkmcnt(0)
	v_lshrrev_b32_e32 v5, 2, v3
	v_xor_b32_e32 v3, v5, v3
	v_and_b32_e32 v3, 0x33333333, v3
	v_cmpx_eq_u32_e32 0, v3
	s_cbranch_execz .LBB3_259
; %bb.261:                              ;   in Loop: Header=BB3_260 Depth=2
	v_add_nc_u32_e32 v2, -1, v2
	v_add_co_u32 v0, s4, v0, 4
	v_add_co_ci_u32_e64 v1, null, 0, v1, s4
	v_cmp_eq_u32_e32 vcc_lo, 0, v2
	s_andn2_b32 s4, s19, exec_lo
	s_andn2_b32 s18, s18, exec_lo
	s_and_b32 s19, vcc_lo, exec_lo
	s_or_b32 s19, s4, s19
	s_branch .LBB3_259
.LBB3_262:                              ;   in Loop: Header=BB3_160 Depth=1
	s_inst_prefetch 0x2
	s_or_b32 exec_lo, exec_lo, s16
	s_orn2_b32 s4, s17, exec_lo
.LBB3_263:                              ;   in Loop: Header=BB3_160 Depth=1
	s_or_b32 exec_lo, exec_lo, s14
	s_andn2_b32 s14, s13, exec_lo
	s_and_b32 s4, s4, exec_lo
	s_or_b32 s4, s14, s4
.LBB3_264:                              ;   in Loop: Header=BB3_160 Depth=1
	s_or_saveexec_b32 s14, s12
	s_mov_b32 s12, 0
	s_mov_b32 s16, s15
	s_xor_b32 exec_lo, exec_lo, s14
; %bb.265:                              ;   in Loop: Header=BB3_160 Depth=1
	v_cmp_ne_u32_e32 vcc_lo, 1, v4
	s_andn2_b32 s16, s15, exec_lo
	s_mov_b32 s12, exec_lo
	s_and_b32 s17, vcc_lo, exec_lo
	s_or_b32 s16, s16, s17
; %bb.266:                              ;   in Loop: Header=BB3_160 Depth=1
	s_or_b32 exec_lo, exec_lo, s14
	s_andn2_b32 s13, s13, exec_lo
	s_and_b32 s4, s4, exec_lo
	v_mov_b32_e32 v52, 2
	s_or_b32 s13, s13, s4
	s_andn2_b32 s4, s15, exec_lo
	s_and_b32 s14, s16, exec_lo
	s_and_b32 s12, s12, exec_lo
	s_or_b32 s15, s4, s14
	s_or_b32 exec_lo, exec_lo, s5
	s_and_saveexec_b32 s14, s15
	s_cbranch_execz .LBB3_226
.LBB3_267:                              ;   in Loop: Header=BB3_160 Depth=1
	s_mov_b32 s4, -1
	s_and_saveexec_b32 s15, s69
	s_cbranch_execz .LBB3_279
; %bb.268:                              ;   in Loop: Header=BB3_160 Depth=1
	v_add_nc_u32_e32 v5, -6, v4
	v_mov_b32_e32 v7, v56
	v_mov_b32_e32 v8, v57
	s_mov_b32 s16, 0
                                        ; implicit-def: $sgpr17
	v_lshlrev_b32_e64 v2, v5, 1
	v_lshlrev_b32_e64 v0, v5, 2
	v_cmp_ne_u32_e32 vcc_lo, 31, v5
	v_ashrrev_i32_e32 v3, 31, v2
	v_ashrrev_i32_e32 v1, 31, v0
	v_max_i32_e32 v11, 1, v2
	v_lshlrev_b64 v[2:3], 2, v[2:3]
	v_lshlrev_b64 v[5:6], 2, v[0:1]
	v_mov_b32_e32 v1, 0
	s_branch .LBB3_270
.LBB3_269:                              ;   in Loop: Header=BB3_270 Depth=2
	s_or_b32 exec_lo, exec_lo, s19
	s_xor_b32 s4, s5, -1
	s_and_b32 s5, exec_lo, s18
	s_or_b32 s16, s5, s16
	s_andn2_b32 s5, s17, exec_lo
	s_and_b32 s4, s4, exec_lo
	s_or_b32 s17, s5, s4
	s_andn2_b32 exec_lo, exec_lo, s16
	s_cbranch_execz .LBB3_278
.LBB3_270:                              ;   Parent Loop BB3_160 Depth=1
                                        ; =>  This Loop Header: Depth=2
                                        ;       Child Loop BB3_273 Depth 3
	s_mov_b32 s18, -1
	s_mov_b32 s4, -1
	s_and_saveexec_b32 s19, vcc_lo
	s_cbranch_execz .LBB3_276
; %bb.271:                              ;   in Loop: Header=BB3_270 Depth=2
	v_mov_b32_e32 v10, v8
	v_mov_b32_e32 v9, v7
	v_mov_b32_e32 v12, v11
	s_mov_b32 s20, 0
                                        ; implicit-def: $sgpr21
                                        ; implicit-def: $sgpr23
                                        ; implicit-def: $sgpr22
	s_inst_prefetch 0x1
	s_branch .LBB3_273
	.p2align	6
.LBB3_272:                              ;   in Loop: Header=BB3_273 Depth=3
	s_or_b32 exec_lo, exec_lo, s24
	s_xor_b32 s4, s22, -1
	s_and_b32 s5, exec_lo, s23
	s_or_b32 s20, s5, s20
	s_andn2_b32 s5, s21, exec_lo
	s_and_b32 s4, s4, exec_lo
	s_or_b32 s21, s5, s4
	s_andn2_b32 exec_lo, exec_lo, s20
	s_cbranch_execz .LBB3_275
.LBB3_273:                              ;   Parent Loop BB3_160 Depth=1
                                        ;     Parent Loop BB3_270 Depth=2
                                        ; =>    This Inner Loop Header: Depth=3
	v_add_co_u32 v13, s4, v9, v2
	v_add_co_ci_u32_e64 v14, null, v10, v3, s4
	s_or_b32 s22, s22, exec_lo
	s_or_b32 s23, s23, exec_lo
	s_clause 0x1
	flat_load_dword v15, v[9:10]
	flat_load_dword v13, v[13:14]
	s_mov_b32 s24, exec_lo
	s_waitcnt vmcnt(0) lgkmcnt(0)
	v_cmpx_eq_u32_e64 v15, v13
	s_cbranch_execz .LBB3_272
; %bb.274:                              ;   in Loop: Header=BB3_273 Depth=3
	v_add_nc_u32_e32 v12, -1, v12
	v_add_co_u32 v9, s5, v9, 4
	v_add_co_ci_u32_e64 v10, null, 0, v10, s5
	v_cmp_eq_u32_e64 s4, 0, v12
	s_andn2_b32 s5, s23, exec_lo
	s_andn2_b32 s22, s22, exec_lo
	s_and_b32 s4, s4, exec_lo
	s_or_b32 s23, s5, s4
	s_branch .LBB3_272
.LBB3_275:                              ;   in Loop: Header=BB3_270 Depth=2
	s_inst_prefetch 0x2
	s_or_b32 exec_lo, exec_lo, s20
	s_orn2_b32 s4, s21, exec_lo
.LBB3_276:                              ;   in Loop: Header=BB3_270 Depth=2
	s_or_b32 exec_lo, exec_lo, s19
	s_mov_b32 s5, -1
	s_and_saveexec_b32 s19, s4
	s_cbranch_execz .LBB3_269
; %bb.277:                              ;   in Loop: Header=BB3_270 Depth=2
	v_add_nc_u32_e32 v1, v1, v0
	v_add_co_u32 v7, s5, v7, v5
	v_add_co_ci_u32_e64 v8, null, v8, v6, s5
	v_cmp_ge_i32_e64 s4, v1, v73
	s_xor_b32 s5, exec_lo, -1
	s_orn2_b32 s18, s4, exec_lo
	s_branch .LBB3_269
.LBB3_278:                              ;   in Loop: Header=BB3_160 Depth=1
	s_or_b32 exec_lo, exec_lo, s16
	s_orn2_b32 s4, s17, exec_lo
.LBB3_279:                              ;   in Loop: Header=BB3_160 Depth=1
	s_or_b32 exec_lo, exec_lo, s15
	v_mov_b32_e32 v52, v4
	s_andn2_b32 s5, s13, exec_lo
	s_and_b32 s4, s4, exec_lo
	s_andn2_b32 s12, s12, exec_lo
	s_or_b32 s13, s5, s4
	s_or_b32 exec_lo, exec_lo, s14
	s_and_saveexec_b32 s4, s12
	s_xor_b32 s5, exec_lo, s4
	s_cbranch_execz .LBB3_287
.LBB3_280:                              ;   in Loop: Header=BB3_160 Depth=1
	s_mov_b32 s4, -1
	s_and_saveexec_b32 s12, s69
	s_cbranch_execz .LBB3_286
; %bb.281:                              ;   in Loop: Header=BB3_160 Depth=1
	v_mov_b32_e32 v0, v56
	v_mov_b32_e32 v1, v57
	v_mov_b32_e32 v2, v73
	s_mov_b32 s14, 0
                                        ; implicit-def: $sgpr15
                                        ; implicit-def: $sgpr17
                                        ; implicit-def: $sgpr16
	s_inst_prefetch 0x1
	s_branch .LBB3_283
	.p2align	6
.LBB3_282:                              ;   in Loop: Header=BB3_283 Depth=2
	s_or_b32 exec_lo, exec_lo, s18
	s_xor_b32 s4, s16, -1
	s_and_b32 s18, exec_lo, s17
	s_or_b32 s14, s18, s14
	s_andn2_b32 s15, s15, exec_lo
	s_and_b32 s4, s4, exec_lo
	s_or_b32 s15, s15, s4
	s_andn2_b32 exec_lo, exec_lo, s14
	s_cbranch_execz .LBB3_285
.LBB3_283:                              ;   Parent Loop BB3_160 Depth=1
                                        ; =>  This Inner Loop Header: Depth=2
	flat_load_dword v3, v[0:1]
	s_or_b32 s16, s16, exec_lo
	s_or_b32 s17, s17, exec_lo
	s_mov_b32 s18, exec_lo
	s_waitcnt vmcnt(0) lgkmcnt(0)
	v_lshrrev_b32_e32 v5, 1, v3
	v_xor_b32_e32 v3, v5, v3
	v_and_b32_e32 v3, 0x55555555, v3
	v_cmpx_eq_u32_e32 0, v3
	s_cbranch_execz .LBB3_282
; %bb.284:                              ;   in Loop: Header=BB3_283 Depth=2
	v_add_nc_u32_e32 v2, -1, v2
	v_add_co_u32 v0, s4, v0, 4
	v_add_co_ci_u32_e64 v1, null, 0, v1, s4
	v_cmp_eq_u32_e32 vcc_lo, 0, v2
	s_andn2_b32 s4, s17, exec_lo
	s_andn2_b32 s16, s16, exec_lo
	s_and_b32 s17, vcc_lo, exec_lo
	s_or_b32 s17, s4, s17
	s_branch .LBB3_282
.LBB3_285:                              ;   in Loop: Header=BB3_160 Depth=1
	s_inst_prefetch 0x2
	s_or_b32 exec_lo, exec_lo, s14
	s_orn2_b32 s4, s15, exec_lo
.LBB3_286:                              ;   in Loop: Header=BB3_160 Depth=1
	s_or_b32 exec_lo, exec_lo, s12
	s_andn2_b32 s12, s13, exec_lo
	s_and_b32 s4, s4, exec_lo
	v_mov_b32_e32 v52, 1
	s_or_b32 s13, s12, s4
.LBB3_287:                              ;   in Loop: Header=BB3_160 Depth=1
	s_or_b32 exec_lo, exec_lo, s5
	s_mov_b32 s4, -1
	s_mov_b32 s5, -1
	s_and_saveexec_b32 s12, s13
	s_cbranch_execz .LBB3_158
; %bb.288:                              ;   in Loop: Header=BB3_160 Depth=1
	v_cmp_gt_i32_e32 vcc_lo, 2, v4
	s_xor_b32 s5, exec_lo, -1
	s_orn2_b32 s4, vcc_lo, exec_lo
	s_branch .LBB3_158
.LBB3_289:
	s_or_b32 exec_lo, exec_lo, s7
	s_mov_b32 s21, exec_lo
	s_orn2_b32 s4, s10, exec_lo
	s_or_b32 exec_lo, exec_lo, s6
	s_mov_b32 s70, s64
	s_and_saveexec_b32 s24, s4
	s_cbranch_execz .LBB3_156
.LBB3_290:
	s_getpc_b64 s[4:5]
	s_add_u32 s4, s4, .str.21@rel32@lo+4
	s_addc_u32 s5, s5, .str.21@rel32@hi+12
	s_getpc_b64 s[6:7]
	s_add_u32 s6, s6, .str.16@rel32@lo+4
	s_addc_u32 s7, s7, .str.16@rel32@hi+12
	s_getpc_b64 s[10:11]
	s_add_u32 s10, s10, __PRETTY_FUNCTION__._ZN3sop13minatoIsopRecEPKjS1_iPNS_3SopEP7VecsMemIjLi8192EE@rel32@lo+4
	s_addc_u32 s11, s11, __PRETTY_FUNCTION__._ZN3sop13minatoIsopRecEPKjS1_iPNS_3SopEP7VecsMemIjLi8192EE@rel32@hi+12
	v_mov_b32_e32 v0, s4
	v_mov_b32_e32 v1, s5
	;; [unrolled: 1-line block ×8, first 2 shown]
	s_getpc_b64 s[12:13]
	s_add_u32 s12, s12, __assert_fail@rel32@lo+4
	s_addc_u32 s13, s13, __assert_fail@rel32@hi+12
	s_mov_b64 s[22:23], s[8:9]
	s_swappc_b64 s[30:31], s[12:13]
	v_mov_b32_e32 v4, v53
	s_mov_b64 s[8:9], s[22:23]
	s_or_b32 s70, s64, exec_lo
	s_andn2_b32 s21, s21, exec_lo
	s_or_b32 exec_lo, exec_lo, s24
	s_mov_b32 s4, 0
	s_and_saveexec_b32 s71, s21
	s_cbranch_execz .LBB3_494
.LBB3_291:
	s_mov_b32 s80, 0
	s_mov_b32 s81, s70
	s_mov_b32 s4, exec_lo
	v_cmpx_lt_i32_e32 5, v52
	s_xor_b32 s37, exec_lo, s4
	s_cbranch_execz .LBB3_488
; %bb.292:
	v_add_nc_u32_e32 v78, -6, v52
	v_lshlrev_b32_e64 v76, v78, 1
	v_cmp_ne_u32_e64 s36, 31, v78
	v_ashrrev_i32_e32 v77, 31, v76
	v_lshlrev_b64 v[74:75], 2, v[76:77]
	s_and_saveexec_b32 s5, s36
	s_cbranch_execz .LBB3_295
; %bb.293:
	v_add_nc_u32_e32 v0, -1, v76
	v_mov_b32_e32 v1, 0
	v_add_nc_u32_e32 v7, 1, v76
	s_mov_b32 s6, 0
	v_lshlrev_b64 v[5:6], 2, v[0:1]
	v_add_co_u32 v2, vcc_lo, v74, v5
	v_add_co_ci_u32_e64 v3, null, v75, v6, vcc_lo
	v_add_co_u32 v0, vcc_lo, v41, v5
	v_add_co_ci_u32_e64 v1, null, v42, v6, vcc_lo
	;; [unrolled: 2-line block ×4, first 2 shown]
	.p2align	6
.LBB3_294:                              ; =>This Inner Loop Header: Depth=1
	flat_load_dword v8, v[5:6]
	flat_load_dword v9, v[2:3]
	v_add_nc_u32_e32 v7, -1, v7
	v_add_co_u32 v2, vcc_lo, v2, -4
	v_add_co_ci_u32_e64 v3, null, -1, v3, vcc_lo
	v_add_co_u32 v5, vcc_lo, v5, -4
	v_add_co_ci_u32_e64 v6, null, -1, v6, vcc_lo
	v_cmp_gt_u32_e32 vcc_lo, 2, v7
	s_or_b32 s6, vcc_lo, s6
	s_waitcnt vmcnt(0) lgkmcnt(0)
	v_bfi_b32 v8, v9, 0, v8
	flat_store_dword v[0:1], v8
	v_add_co_u32 v0, s4, v0, -4
	v_add_co_ci_u32_e64 v1, null, -1, v1, s4
	s_andn2_b32 exec_lo, exec_lo, s6
	s_cbranch_execnz .LBB3_294
.LBB3_295:
	s_or_b32 exec_lo, exec_lo, s5
	v_lshrrev_b32_e64 v5, 5, s33
	s_mov_b64 s[4:5], src_private_base
	v_mov_b32_e32 v0, v41
	v_mov_b32_e32 v1, v42
	v_mov_b32_e32 v2, v56
	v_mov_b32_e32 v3, v57
	v_add_nc_u32_e32 v5, 0x60, v5
	v_mov_b32_e32 v6, s5
	v_mov_b32_e32 v7, v43
	v_mov_b32_e32 v8, v44
	s_getpc_b64 s[6:7]
	s_add_u32 s6, s6, _ZN3sop13minatoIsopRecEPKjS1_iPNS_3SopEP7VecsMemIjLi8192EE@rel32@lo+4
	s_addc_u32 s7, s7, _ZN3sop13minatoIsopRecEPKjS1_iPNS_3SopEP7VecsMemIjLi8192EE@rel32@hi+12
	v_mov_b32_e32 v63, v4
	s_mov_b64 s[34:35], s[8:9]
	s_swappc_b64 s[30:31], s[6:7]
	v_mov_b32_e32 v47, v0
	v_mov_b32_e32 v60, v1
	s_and_saveexec_b32 s5, s36
	s_cbranch_execz .LBB3_298
; %bb.296:
	v_add_nc_u32_e32 v0, -1, v76
	v_mov_b32_e32 v1, 0
	v_add_nc_u32_e32 v6, 1, v76
	s_mov_b32 s6, 0
	v_lshlrev_b64 v[0:1], 2, v[0:1]
	v_add_co_u32 v4, vcc_lo, v74, v0
	v_add_co_ci_u32_e64 v5, null, v75, v1, vcc_lo
	v_add_co_u32 v0, vcc_lo, v56, v0
	v_add_co_ci_u32_e64 v1, null, v57, v1, vcc_lo
	v_add_co_u32 v2, vcc_lo, v41, v4
	v_add_co_ci_u32_e64 v3, null, v42, v5, vcc_lo
	v_add_co_u32 v4, vcc_lo, v58, v4
	v_add_co_ci_u32_e64 v5, null, v59, v5, vcc_lo
	.p2align	6
.LBB3_297:                              ; =>This Inner Loop Header: Depth=1
	flat_load_dword v7, v[4:5]
	flat_load_dword v8, v[0:1]
	v_add_nc_u32_e32 v6, -1, v6
	v_add_co_u32 v0, vcc_lo, v0, -4
	v_add_co_ci_u32_e64 v1, null, -1, v1, vcc_lo
	v_add_co_u32 v4, vcc_lo, v4, -4
	v_add_co_ci_u32_e64 v5, null, -1, v5, vcc_lo
	v_cmp_gt_u32_e32 vcc_lo, 2, v6
	s_or_b32 s6, vcc_lo, s6
	s_waitcnt vmcnt(0) lgkmcnt(0)
	v_bfi_b32 v7, v8, 0, v7
	flat_store_dword v[2:3], v7
	v_add_co_u32 v2, s4, v2, -4
	v_add_co_ci_u32_e64 v3, null, -1, v3, s4
	s_andn2_b32 exec_lo, exec_lo, s6
	s_cbranch_execnz .LBB3_297
.LBB3_298:
	s_or_b32 exec_lo, exec_lo, s5
	v_add_co_u32 v40, vcc_lo, v41, v74
	v_add_co_ci_u32_e64 v72, null, v42, v75, vcc_lo
	v_lshrrev_b32_e64 v5, 5, s33
	s_mov_b64 s[4:5], src_private_base
	v_add_co_u32 v2, vcc_lo, v56, v74
	v_add_co_ci_u32_e64 v3, null, v57, v75, vcc_lo
	v_mov_b32_e32 v0, v40
	v_mov_b32_e32 v1, v72
	;; [unrolled: 1-line block ×3, first 2 shown]
	v_add_nc_u32_e32 v5, 0x70, v5
	v_mov_b32_e32 v6, s5
	v_mov_b32_e32 v7, v43
	;; [unrolled: 1-line block ×3, first 2 shown]
	s_getpc_b64 s[6:7]
	s_add_u32 s6, s6, _ZN3sop13minatoIsopRecEPKjS1_iPNS_3SopEP7VecsMemIjLi8192EE@rel32@lo+4
	s_addc_u32 s7, s7, _ZN3sop13minatoIsopRecEPKjS1_iPNS_3SopEP7VecsMemIjLi8192EE@rel32@hi+12
	s_mov_b64 s[8:9], s[34:35]
	s_swappc_b64 s[30:31], s[6:7]
	v_mov_b32_e32 v61, v0
	v_mov_b32_e32 v62, v1
	s_and_saveexec_b32 s5, s36
	s_cbranch_execz .LBB3_307
; %bb.299:
	v_add_nc_u32_e32 v0, -1, v76
	v_mov_b32_e32 v1, 0
	v_add_nc_u32_e32 v12, 1, v76
	s_mov_b32 s6, 0
	v_lshlrev_b64 v[0:1], 2, v[0:1]
	v_mov_b32_e32 v10, v12
	v_add_co_u32 v2, vcc_lo, v41, v0
	v_add_co_ci_u32_e64 v3, null, v42, v1, vcc_lo
	v_add_co_u32 v4, vcc_lo, v47, v0
	v_add_co_ci_u32_e64 v5, null, v60, v1, vcc_lo
	v_add_co_u32 v6, vcc_lo, v58, v0
	v_mov_b32_e32 v9, v3
	v_add_co_ci_u32_e64 v7, null, v59, v1, vcc_lo
	v_mov_b32_e32 v8, v2
	.p2align	6
.LBB3_300:                              ; =>This Inner Loop Header: Depth=1
	flat_load_dword v11, v[6:7]
	flat_load_dword v13, v[4:5]
	v_add_nc_u32_e32 v10, -1, v10
	v_add_co_u32 v4, vcc_lo, v4, -4
	v_add_co_ci_u32_e64 v5, null, -1, v5, vcc_lo
	v_add_co_u32 v6, vcc_lo, v6, -4
	v_add_co_ci_u32_e64 v7, null, -1, v7, vcc_lo
	v_cmp_gt_u32_e32 vcc_lo, 2, v10
	s_or_b32 s6, vcc_lo, s6
	s_waitcnt vmcnt(0) lgkmcnt(0)
	v_bfi_b32 v11, v13, 0, v11
	flat_store_dword v[8:9], v11
	v_add_co_u32 v8, s4, v8, -4
	v_add_co_ci_u32_e64 v9, null, -1, v9, s4
	s_andn2_b32 exec_lo, exec_lo, s6
	s_cbranch_execnz .LBB3_300
; %bb.301:
	s_or_b32 exec_lo, exec_lo, s6
	v_add_co_u32 v8, vcc_lo, v74, v0
	v_add_co_ci_u32_e64 v9, null, v75, v1, vcc_lo
	v_mov_b32_e32 v13, v12
	v_add_co_u32 v4, vcc_lo, v41, v8
	v_add_co_ci_u32_e64 v5, null, v42, v9, vcc_lo
	v_add_co_u32 v6, vcc_lo, v61, v0
	v_add_co_ci_u32_e64 v7, null, v62, v1, vcc_lo
	v_add_co_u32 v8, vcc_lo, v58, v8
	v_mov_b32_e32 v11, v5
	v_add_co_ci_u32_e64 v9, null, v59, v9, vcc_lo
	v_mov_b32_e32 v10, v4
	s_mov_b32 s6, 0
	.p2align	6
.LBB3_302:                              ; =>This Inner Loop Header: Depth=1
	flat_load_dword v14, v[8:9]
	flat_load_dword v15, v[6:7]
	v_add_nc_u32_e32 v13, -1, v13
	v_add_co_u32 v6, vcc_lo, v6, -4
	v_add_co_ci_u32_e64 v7, null, -1, v7, vcc_lo
	v_add_co_u32 v8, vcc_lo, v8, -4
	v_add_co_ci_u32_e64 v9, null, -1, v9, vcc_lo
	v_cmp_gt_u32_e32 vcc_lo, 2, v13
	s_or_b32 s6, vcc_lo, s6
	s_waitcnt vmcnt(0) lgkmcnt(0)
	v_bfi_b32 v14, v15, 0, v14
	flat_store_dword v[10:11], v14
	v_add_co_u32 v10, s4, v10, -4
	v_add_co_ci_u32_e64 v11, null, -1, v11, s4
	s_andn2_b32 exec_lo, exec_lo, s6
	s_cbranch_execnz .LBB3_302
; %bb.303:
	s_or_b32 exec_lo, exec_lo, s6
	v_mov_b32_e32 v6, v12
	s_mov_b32 s6, 0
	.p2align	6
.LBB3_304:                              ; =>This Inner Loop Header: Depth=1
	v_add_co_u32 v7, vcc_lo, v2, v74
	v_add_co_ci_u32_e64 v8, null, v3, v75, vcc_lo
	v_add_nc_u32_e32 v6, -1, v6
	s_clause 0x1
	flat_load_dword v9, v[2:3]
	flat_load_dword v7, v[7:8]
	v_cmp_gt_u32_e32 vcc_lo, 2, v6
	s_or_b32 s6, vcc_lo, s6
	s_waitcnt vmcnt(0) lgkmcnt(0)
	v_or_b32_e32 v7, v7, v9
	flat_store_dword v[2:3], v7
	v_add_co_u32 v2, s4, v2, -4
	v_add_co_ci_u32_e64 v3, null, -1, v3, s4
	s_andn2_b32 exec_lo, exec_lo, s6
	s_cbranch_execnz .LBB3_304
; %bb.305:
	s_or_b32 exec_lo, exec_lo, s6
	v_add_co_u32 v0, vcc_lo, v56, v0
	v_add_co_ci_u32_e64 v1, null, v57, v1, vcc_lo
	s_mov_b32 s6, 0
	.p2align	6
.LBB3_306:                              ; =>This Inner Loop Header: Depth=1
	v_add_co_u32 v2, vcc_lo, v0, v74
	v_add_co_ci_u32_e64 v3, null, v1, v75, vcc_lo
	v_add_nc_u32_e32 v12, -1, v12
	s_clause 0x1
	flat_load_dword v6, v[0:1]
	flat_load_dword v2, v[2:3]
	v_add_co_u32 v0, vcc_lo, v0, -4
	v_add_co_ci_u32_e64 v1, null, -1, v1, vcc_lo
	v_cmp_gt_u32_e32 vcc_lo, 2, v12
	s_or_b32 s6, vcc_lo, s6
	s_waitcnt vmcnt(0) lgkmcnt(0)
	v_and_b32_e32 v2, v2, v6
	flat_store_dword v[4:5], v2
	v_add_co_u32 v4, s4, v4, -4
	v_add_co_ci_u32_e64 v5, null, -1, v5, s4
	s_andn2_b32 exec_lo, exec_lo, s6
	s_cbranch_execnz .LBB3_306
.LBB3_307:
	s_or_b32 exec_lo, exec_lo, s5
	v_lshrrev_b32_e64 v5, 5, s33
	s_mov_b64 s[4:5], src_private_base
	v_mov_b32_e32 v0, v41
	v_mov_b32_e32 v1, v42
	;; [unrolled: 1-line block ×5, first 2 shown]
	v_add_nc_u32_e32 v5, 0x80, v5
	v_mov_b32_e32 v6, s5
	v_mov_b32_e32 v7, v43
	;; [unrolled: 1-line block ×3, first 2 shown]
	s_getpc_b64 s[6:7]
	s_add_u32 s6, s6, _ZN3sop13minatoIsopRecEPKjS1_iPNS_3SopEP7VecsMemIjLi8192EE@rel32@lo+4
	s_addc_u32 s7, s7, _ZN3sop13minatoIsopRecEPKjS1_iPNS_3SopEP7VecsMemIjLi8192EE@rel32@hi+12
	s_mov_b64 s[8:9], s[34:35]
	s_swappc_b64 s[30:31], s[6:7]
	s_clause 0x5
	buffer_load_dword v64, off, s[0:3], s33 offset:100
	buffer_load_dword v55, off, s[0:3], s33 offset:116
	;; [unrolled: 1-line block ×6, first 2 shown]
	v_mov_b32_e32 v52, 0
	v_mov_b32_e32 v53, 0
	s_mov_b32 s21, 0
	s_mov_b32 s4, -1
	s_mov_b32 s24, s70
	s_mov_b32 s22, exec_lo
	s_waitcnt vmcnt(4)
	v_add_nc_u32_e32 v3, v55, v64
	s_waitcnt vmcnt(3)
	v_add_nc_u32_e32 v2, v3, v2
	;; [unrolled: 2-line block ×3, first 2 shown]
	s_waitcnt vmcnt(0)
	v_add3_u32 v2, v2, v4, v5
	flat_store_dwordx2 v[45:46], v[2:3]
	v_cmpx_lt_i32_e32 0, v3
	s_cbranch_execz .LBB3_454
; %bb.308:
	flat_load_dword v2, v[43:44]
	v_mov_b32_e32 v52, 0
	v_mov_b32_e32 v53, 0
	s_mov_b32 s23, 0
	s_mov_b32 s4, exec_lo
	s_waitcnt vmcnt(0) lgkmcnt(0)
	v_add_nc_u32_e32 v4, v2, v3
	v_cmpx_gt_i32_e32 0x2001, v4
	s_xor_b32 s4, exec_lo, s4
	s_cbranch_execz .LBB3_310
; %bb.309:
	v_ashrrev_i32_e32 v5, 31, v4
	v_mov_b32_e32 v7, 0
	v_mov_b32_e32 v6, v3
	s_mov_b32 s23, exec_lo
	flat_store_dword v[43:44], v4
	v_lshlrev_b64 v[2:3], 2, v[4:5]
	v_lshlrev_b64 v[5:6], 2, v[6:7]
	v_add_co_u32 v2, vcc_lo, v43, v2
	v_add_co_ci_u32_e64 v3, null, v44, v3, vcc_lo
	v_sub_co_u32 v2, vcc_lo, v2, v5
	v_sub_co_ci_u32_e64 v3, null, v3, v6, vcc_lo
	v_add_co_u32 v52, vcc_lo, v2, 4
	v_add_co_ci_u32_e64 v53, null, 0, v3, vcc_lo
.LBB3_310:
	s_or_saveexec_b32 s24, s4
	s_mov_b32 s4, s70
	s_xor_b32 exec_lo, exec_lo, s24
	s_cbranch_execz .LBB3_453
; %bb.311:
	s_load_dwordx2 s[6:7], s[34:35], 0x50
	v_mbcnt_lo_u32_b32 v31, -1, 0
	v_mov_b32_e32 v8, 0
	v_mov_b32_e32 v9, 0
	s_mov_b64 s[8:9], s[34:35]
	v_readfirstlane_b32 s4, v31
	v_cmp_eq_u32_e64 s4, s4, v31
	s_and_saveexec_b32 s5, s4
	s_cbranch_execz .LBB3_317
; %bb.312:
	v_mov_b32_e32 v2, 0
	s_mov_b32 s10, exec_lo
	s_waitcnt lgkmcnt(0)
	global_load_dwordx2 v[5:6], v2, s[6:7] offset:24 glc dlc
	s_waitcnt vmcnt(0)
	buffer_gl1_inv
	buffer_gl0_inv
	s_clause 0x1
	global_load_dwordx2 v[3:4], v2, s[6:7] offset:40
	global_load_dwordx2 v[7:8], v2, s[6:7]
	s_waitcnt vmcnt(1)
	v_and_b32_e32 v4, v4, v6
	v_and_b32_e32 v3, v3, v5
	v_mul_lo_u32 v4, v4, 24
	v_mul_hi_u32 v9, v3, 24
	v_mul_lo_u32 v3, v3, 24
	v_add_nc_u32_e32 v4, v9, v4
	s_waitcnt vmcnt(0)
	v_add_co_u32 v3, vcc_lo, v7, v3
	v_add_co_ci_u32_e64 v4, null, v8, v4, vcc_lo
	global_load_dwordx2 v[3:4], v[3:4], off glc dlc
	s_waitcnt vmcnt(0)
	global_atomic_cmpswap_x2 v[8:9], v2, v[3:6], s[6:7] offset:24 glc
	s_waitcnt vmcnt(0)
	buffer_gl1_inv
	buffer_gl0_inv
	v_cmpx_ne_u64_e64 v[8:9], v[5:6]
	s_cbranch_execz .LBB3_316
; %bb.313:
	s_mov_b32 s11, 0
.LBB3_314:                              ; =>This Inner Loop Header: Depth=1
	s_sleep 1
	s_clause 0x1
	global_load_dwordx2 v[3:4], v2, s[6:7] offset:40
	global_load_dwordx2 v[10:11], v2, s[6:7]
	v_mov_b32_e32 v5, v8
	v_mov_b32_e32 v6, v9
	s_waitcnt vmcnt(1)
	v_and_b32_e32 v3, v3, v5
	v_and_b32_e32 v4, v4, v6
	s_waitcnt vmcnt(0)
	v_mad_u64_u32 v[7:8], null, v3, 24, v[10:11]
	v_mov_b32_e32 v3, v8
	v_mad_u64_u32 v[3:4], null, v4, 24, v[3:4]
	v_mov_b32_e32 v8, v3
	global_load_dwordx2 v[3:4], v[7:8], off glc dlc
	s_waitcnt vmcnt(0)
	global_atomic_cmpswap_x2 v[8:9], v2, v[3:6], s[6:7] offset:24 glc
	s_waitcnt vmcnt(0)
	buffer_gl1_inv
	buffer_gl0_inv
	v_cmp_eq_u64_e32 vcc_lo, v[8:9], v[5:6]
	s_or_b32 s11, vcc_lo, s11
	s_andn2_b32 exec_lo, exec_lo, s11
	s_cbranch_execnz .LBB3_314
; %bb.315:
	s_or_b32 exec_lo, exec_lo, s11
.LBB3_316:
	s_or_b32 exec_lo, exec_lo, s10
.LBB3_317:
	s_or_b32 exec_lo, exec_lo, s5
	v_mov_b32_e32 v7, 0
	v_readfirstlane_b32 s11, v9
	v_readfirstlane_b32 s10, v8
	s_mov_b32 s5, exec_lo
	s_waitcnt lgkmcnt(0)
	s_clause 0x1
	global_load_dwordx2 v[10:11], v7, s[6:7] offset:40
	global_load_dwordx4 v[2:5], v7, s[6:7]
	s_waitcnt vmcnt(1)
	v_readfirstlane_b32 s12, v10
	v_readfirstlane_b32 s13, v11
	s_and_b64 s[12:13], s[12:13], s[10:11]
	s_mul_i32 s14, s13, 24
	s_mul_hi_u32 s15, s12, 24
	s_mul_i32 s16, s12, 24
	s_add_i32 s15, s15, s14
	s_waitcnt vmcnt(0)
	v_add_co_u32 v10, vcc_lo, v2, s16
	v_add_co_ci_u32_e64 v11, null, s15, v3, vcc_lo
	s_and_saveexec_b32 s14, s4
	s_cbranch_execz .LBB3_319
; %bb.318:
	v_mov_b32_e32 v6, s5
	v_mov_b32_e32 v8, 2
	v_mov_b32_e32 v9, 1
	global_store_dwordx4 v[10:11], v[6:9], off offset:8
.LBB3_319:
	s_or_b32 exec_lo, exec_lo, s14
	s_lshl_b64 s[12:13], s[12:13], 12
	v_lshlrev_b32_e32 v30, 6, v31
	v_add_co_u32 v4, vcc_lo, v4, s12
	v_add_co_ci_u32_e64 v5, null, s13, v5, vcc_lo
	s_mov_b32 s12, 0
	v_add_co_u32 v12, vcc_lo, v4, v30
	s_mov_b32 s15, s12
	s_mov_b32 s13, s12
	;; [unrolled: 1-line block ×3, first 2 shown]
	v_mov_b32_e32 v6, 33
	v_mov_b32_e32 v8, v7
	;; [unrolled: 1-line block ×3, first 2 shown]
	v_readfirstlane_b32 s16, v4
	v_readfirstlane_b32 s17, v5
	v_mov_b32_e32 v17, s15
	v_add_co_ci_u32_e64 v13, null, 0, v5, vcc_lo
	v_mov_b32_e32 v16, s14
	v_mov_b32_e32 v15, s13
	;; [unrolled: 1-line block ×3, first 2 shown]
	global_store_dwordx4 v30, v[6:9], s[16:17]
	global_store_dwordx4 v30, v[14:17], s[16:17] offset:16
	global_store_dwordx4 v30, v[14:17], s[16:17] offset:32
	global_store_dwordx4 v30, v[14:17], s[16:17] offset:48
	s_and_saveexec_b32 s5, s4
	s_cbranch_execz .LBB3_327
; %bb.320:
	v_mov_b32_e32 v8, 0
	v_mov_b32_e32 v14, s10
	;; [unrolled: 1-line block ×3, first 2 shown]
	s_mov_b32 s12, exec_lo
	s_clause 0x1
	global_load_dwordx2 v[16:17], v8, s[6:7] offset:32 glc dlc
	global_load_dwordx2 v[4:5], v8, s[6:7] offset:40
	s_waitcnt vmcnt(0)
	v_and_b32_e32 v5, s11, v5
	v_and_b32_e32 v4, s10, v4
	v_mul_lo_u32 v5, v5, 24
	v_mul_hi_u32 v6, v4, 24
	v_mul_lo_u32 v4, v4, 24
	v_add_nc_u32_e32 v5, v6, v5
	v_add_co_u32 v6, vcc_lo, v2, v4
	v_add_co_ci_u32_e64 v7, null, v3, v5, vcc_lo
	global_store_dwordx2 v[6:7], v[16:17], off
	s_waitcnt_vscnt null, 0x0
	global_atomic_cmpswap_x2 v[4:5], v8, v[14:17], s[6:7] offset:32 glc
	s_waitcnt vmcnt(0)
	v_cmpx_ne_u64_e64 v[4:5], v[16:17]
	s_cbranch_execz .LBB3_323
; %bb.321:
	s_mov_b32 s13, 0
.LBB3_322:                              ; =>This Inner Loop Header: Depth=1
	v_mov_b32_e32 v2, s10
	v_mov_b32_e32 v3, s11
	s_sleep 1
	global_store_dwordx2 v[6:7], v[4:5], off
	s_waitcnt_vscnt null, 0x0
	global_atomic_cmpswap_x2 v[2:3], v8, v[2:5], s[6:7] offset:32 glc
	s_waitcnt vmcnt(0)
	v_cmp_eq_u64_e32 vcc_lo, v[2:3], v[4:5]
	v_mov_b32_e32 v5, v3
	v_mov_b32_e32 v4, v2
	s_or_b32 s13, vcc_lo, s13
	s_andn2_b32 exec_lo, exec_lo, s13
	s_cbranch_execnz .LBB3_322
.LBB3_323:
	s_or_b32 exec_lo, exec_lo, s12
	v_mov_b32_e32 v5, 0
	s_mov_b32 s13, exec_lo
	s_mov_b32 s12, exec_lo
	v_mbcnt_lo_u32_b32 v4, s13, 0
	global_load_dwordx2 v[2:3], v5, s[6:7] offset:16
	v_cmpx_eq_u32_e32 0, v4
	s_cbranch_execz .LBB3_325
; %bb.324:
	s_bcnt1_i32_b32 s13, s13
	v_mov_b32_e32 v4, s13
	s_waitcnt vmcnt(0)
	global_atomic_add_x2 v[2:3], v[4:5], off offset:8
.LBB3_325:
	s_or_b32 exec_lo, exec_lo, s12
	s_waitcnt vmcnt(0)
	global_load_dwordx2 v[4:5], v[2:3], off offset:16
	s_waitcnt vmcnt(0)
	v_cmp_eq_u64_e32 vcc_lo, 0, v[4:5]
	s_cbranch_vccnz .LBB3_327
; %bb.326:
	global_load_dword v2, v[2:3], off offset:24
	v_mov_b32_e32 v3, 0
	s_waitcnt vmcnt(0)
	v_readfirstlane_b32 s12, v2
	s_waitcnt_vscnt null, 0x0
	global_store_dwordx2 v[4:5], v[2:3], off
	s_and_b32 m0, s12, 0x7fffff
	s_sendmsg sendmsg(MSG_INTERRUPT)
.LBB3_327:
	s_or_b32 exec_lo, exec_lo, s5
	s_branch .LBB3_331
.LBB3_328:                              ;   in Loop: Header=BB3_331 Depth=1
	s_or_b32 exec_lo, exec_lo, s5
	v_readfirstlane_b32 s5, v2
	s_cmp_eq_u32 s5, 0
	s_cbranch_scc1 .LBB3_330
; %bb.329:                              ;   in Loop: Header=BB3_331 Depth=1
	s_sleep 1
	s_cbranch_execnz .LBB3_331
	s_branch .LBB3_333
.LBB3_330:
	s_branch .LBB3_333
.LBB3_331:                              ; =>This Inner Loop Header: Depth=1
	v_mov_b32_e32 v2, 1
	s_and_saveexec_b32 s5, s4
	s_cbranch_execz .LBB3_328
; %bb.332:                              ;   in Loop: Header=BB3_331 Depth=1
	global_load_dword v2, v[10:11], off offset:20 glc dlc
	s_waitcnt vmcnt(0)
	buffer_gl1_inv
	buffer_gl0_inv
	v_and_b32_e32 v2, 1, v2
	s_branch .LBB3_328
.LBB3_333:
	global_load_dwordx2 v[2:3], v[12:13], off
	s_and_saveexec_b32 s12, s4
	s_cbranch_execz .LBB3_337
; %bb.334:
	v_mov_b32_e32 v10, 0
	s_clause 0x2
	global_load_dwordx2 v[4:5], v10, s[6:7] offset:40
	global_load_dwordx2 v[13:14], v10, s[6:7] offset:24 glc dlc
	global_load_dwordx2 v[6:7], v10, s[6:7]
	s_waitcnt vmcnt(2)
	v_readfirstlane_b32 s14, v4
	v_readfirstlane_b32 s15, v5
	s_add_u32 s13, s14, 1
	s_addc_u32 s16, s15, 0
	s_add_u32 s4, s13, s10
	s_addc_u32 s5, s16, s11
	s_cmp_eq_u64 s[4:5], 0
	s_cselect_b32 s5, s16, s5
	s_cselect_b32 s4, s13, s4
	v_mov_b32_e32 v12, s5
	s_and_b64 s[10:11], s[4:5], s[14:15]
	v_mov_b32_e32 v11, s4
	s_mul_i32 s11, s11, 24
	s_mul_hi_u32 s13, s10, 24
	s_mul_i32 s10, s10, 24
	s_add_i32 s13, s13, s11
	s_waitcnt vmcnt(0)
	v_add_co_u32 v8, vcc_lo, v6, s10
	v_add_co_ci_u32_e64 v9, null, s13, v7, vcc_lo
	global_store_dwordx2 v[8:9], v[13:14], off
	s_waitcnt_vscnt null, 0x0
	global_atomic_cmpswap_x2 v[6:7], v10, v[11:14], s[6:7] offset:24 glc
	s_waitcnt vmcnt(0)
	v_cmp_ne_u64_e32 vcc_lo, v[6:7], v[13:14]
	s_and_b32 exec_lo, exec_lo, vcc_lo
	s_cbranch_execz .LBB3_337
; %bb.335:
	s_mov_b32 s10, 0
.LBB3_336:                              ; =>This Inner Loop Header: Depth=1
	v_mov_b32_e32 v4, s4
	v_mov_b32_e32 v5, s5
	s_sleep 1
	global_store_dwordx2 v[8:9], v[6:7], off
	s_waitcnt_vscnt null, 0x0
	global_atomic_cmpswap_x2 v[4:5], v10, v[4:7], s[6:7] offset:24 glc
	s_waitcnt vmcnt(0)
	v_cmp_eq_u64_e32 vcc_lo, v[4:5], v[6:7]
	v_mov_b32_e32 v7, v5
	v_mov_b32_e32 v6, v4
	s_or_b32 s10, vcc_lo, s10
	s_andn2_b32 exec_lo, exec_lo, s10
	s_cbranch_execnz .LBB3_336
.LBB3_337:
	s_or_b32 exec_lo, exec_lo, s12
	s_getpc_b64 s[10:11]
	s_add_u32 s10, s10, .str.28@rel32@lo+4
	s_addc_u32 s11, s11, .str.28@rel32@hi+12
	s_cmp_lg_u64 s[10:11], 0
	s_cbranch_scc0 .LBB3_423
; %bb.338:
	s_waitcnt vmcnt(0)
	v_and_b32_e32 v8, -3, v2
	v_mov_b32_e32 v9, v3
	v_mov_b32_e32 v5, 0
	;; [unrolled: 1-line block ×4, first 2 shown]
	s_mov_b64 s[12:13], 35
	s_branch .LBB3_340
.LBB3_339:                              ;   in Loop: Header=BB3_340 Depth=1
	s_or_b32 exec_lo, exec_lo, s18
	s_sub_u32 s12, s12, s14
	s_subb_u32 s13, s13, s15
	s_add_u32 s10, s10, s14
	s_addc_u32 s11, s11, s15
	s_cmp_lg_u64 s[12:13], 0
	s_cbranch_scc0 .LBB3_422
.LBB3_340:                              ; =>This Loop Header: Depth=1
                                        ;     Child Loop BB3_343 Depth 2
                                        ;     Child Loop BB3_351 Depth 2
	;; [unrolled: 1-line block ×11, first 2 shown]
	v_cmp_lt_u64_e64 s4, s[12:13], 56
	v_cmp_gt_u64_e64 s16, s[12:13], 7
	s_and_b32 s4, s4, exec_lo
	s_cselect_b32 s15, s13, 0
	s_cselect_b32 s14, s12, 56
	s_add_u32 s4, s10, 8
	s_addc_u32 s5, s11, 0
	s_and_b32 vcc_lo, exec_lo, s16
	s_cbranch_vccnz .LBB3_345
; %bb.341:                              ;   in Loop: Header=BB3_340 Depth=1
	s_waitcnt vmcnt(0)
	v_mov_b32_e32 v10, 0
	v_mov_b32_e32 v11, 0
	s_cmp_eq_u64 s[12:13], 0
	s_cbranch_scc1 .LBB3_344
; %bb.342:                              ;   in Loop: Header=BB3_340 Depth=1
	s_lshl_b64 s[4:5], s[14:15], 3
	s_mov_b64 s[16:17], 0
	s_mov_b64 s[18:19], s[10:11]
.LBB3_343:                              ;   Parent Loop BB3_340 Depth=1
                                        ; =>  This Inner Loop Header: Depth=2
	global_load_ubyte v4, v5, s[18:19]
	s_waitcnt vmcnt(0)
	v_and_b32_e32 v4, 0xffff, v4
	v_lshlrev_b64 v[12:13], s16, v[4:5]
	s_add_u32 s16, s16, 8
	s_addc_u32 s17, s17, 0
	s_add_u32 s18, s18, 1
	s_addc_u32 s19, s19, 0
	s_cmp_lg_u32 s4, s16
	v_or_b32_e32 v10, v12, v10
	v_or_b32_e32 v11, v13, v11
	s_cbranch_scc1 .LBB3_343
.LBB3_344:                              ;   in Loop: Header=BB3_340 Depth=1
	s_mov_b32 s16, 0
	s_mov_b64 s[4:5], s[10:11]
	s_branch .LBB3_346
.LBB3_345:                              ;   in Loop: Header=BB3_340 Depth=1
	s_mov_b32 s16, -1
.LBB3_346:                              ;   in Loop: Header=BB3_340 Depth=1
	s_andn2_b32 vcc_lo, exec_lo, s16
	s_mov_b32 s20, 0
	s_cbranch_vccnz .LBB3_348
; %bb.347:                              ;   in Loop: Header=BB3_340 Depth=1
	global_load_dwordx2 v[10:11], v5, s[10:11]
	s_add_i32 s20, s14, -8
.LBB3_348:                              ;   in Loop: Header=BB3_340 Depth=1
	s_add_u32 s16, s4, 8
	s_addc_u32 s17, s5, 0
	s_cmp_gt_u32 s20, 7
	s_cbranch_scc1 .LBB3_353
; %bb.349:                              ;   in Loop: Header=BB3_340 Depth=1
	v_mov_b32_e32 v12, 0
	v_mov_b32_e32 v13, 0
	s_cmp_eq_u32 s20, 0
	s_cbranch_scc1 .LBB3_352
; %bb.350:                              ;   in Loop: Header=BB3_340 Depth=1
	s_mov_b64 s[16:17], 0
	s_mov_b64 s[18:19], 0
.LBB3_351:                              ;   Parent Loop BB3_340 Depth=1
                                        ; =>  This Inner Loop Header: Depth=2
	s_add_u32 s26, s4, s18
	s_addc_u32 s27, s5, s19
	s_add_u32 s18, s18, 1
	global_load_ubyte v4, v5, s[26:27]
	s_addc_u32 s19, s19, 0
	s_waitcnt vmcnt(0)
	v_and_b32_e32 v4, 0xffff, v4
	v_lshlrev_b64 v[14:15], s16, v[4:5]
	s_add_u32 s16, s16, 8
	s_addc_u32 s17, s17, 0
	s_cmp_lg_u32 s20, s18
	v_or_b32_e32 v12, v14, v12
	v_or_b32_e32 v13, v15, v13
	s_cbranch_scc1 .LBB3_351
.LBB3_352:                              ;   in Loop: Header=BB3_340 Depth=1
	s_mov_b32 s18, 0
	s_mov_b64 s[16:17], s[4:5]
	s_branch .LBB3_354
.LBB3_353:                              ;   in Loop: Header=BB3_340 Depth=1
	s_mov_b32 s18, -1
                                        ; implicit-def: $vgpr12_vgpr13
.LBB3_354:                              ;   in Loop: Header=BB3_340 Depth=1
	s_andn2_b32 vcc_lo, exec_lo, s18
	s_mov_b32 s25, 0
	s_cbranch_vccnz .LBB3_356
; %bb.355:                              ;   in Loop: Header=BB3_340 Depth=1
	global_load_dwordx2 v[12:13], v5, s[4:5]
	s_add_i32 s25, s20, -8
.LBB3_356:                              ;   in Loop: Header=BB3_340 Depth=1
	s_add_u32 s4, s16, 8
	s_addc_u32 s5, s17, 0
	s_cmp_gt_u32 s25, 7
	s_cbranch_scc1 .LBB3_361
; %bb.357:                              ;   in Loop: Header=BB3_340 Depth=1
	v_mov_b32_e32 v14, 0
	v_mov_b32_e32 v15, 0
	s_cmp_eq_u32 s25, 0
	s_cbranch_scc1 .LBB3_360
; %bb.358:                              ;   in Loop: Header=BB3_340 Depth=1
	s_mov_b64 s[4:5], 0
	s_mov_b64 s[18:19], 0
.LBB3_359:                              ;   Parent Loop BB3_340 Depth=1
                                        ; =>  This Inner Loop Header: Depth=2
	s_add_u32 s26, s16, s18
	s_addc_u32 s27, s17, s19
	s_add_u32 s18, s18, 1
	global_load_ubyte v4, v5, s[26:27]
	s_addc_u32 s19, s19, 0
	s_waitcnt vmcnt(0)
	v_and_b32_e32 v4, 0xffff, v4
	v_lshlrev_b64 v[16:17], s4, v[4:5]
	s_add_u32 s4, s4, 8
	s_addc_u32 s5, s5, 0
	s_cmp_lg_u32 s25, s18
	v_or_b32_e32 v14, v16, v14
	v_or_b32_e32 v15, v17, v15
	s_cbranch_scc1 .LBB3_359
.LBB3_360:                              ;   in Loop: Header=BB3_340 Depth=1
	s_mov_b32 s18, 0
	s_mov_b64 s[4:5], s[16:17]
	s_branch .LBB3_362
.LBB3_361:                              ;   in Loop: Header=BB3_340 Depth=1
	s_mov_b32 s18, -1
.LBB3_362:                              ;   in Loop: Header=BB3_340 Depth=1
	s_andn2_b32 vcc_lo, exec_lo, s18
	s_mov_b32 s20, 0
	s_cbranch_vccnz .LBB3_364
; %bb.363:                              ;   in Loop: Header=BB3_340 Depth=1
	global_load_dwordx2 v[14:15], v5, s[16:17]
	s_add_i32 s20, s25, -8
.LBB3_364:                              ;   in Loop: Header=BB3_340 Depth=1
	s_add_u32 s16, s4, 8
	s_addc_u32 s17, s5, 0
	s_cmp_gt_u32 s20, 7
	s_cbranch_scc1 .LBB3_369
; %bb.365:                              ;   in Loop: Header=BB3_340 Depth=1
	v_mov_b32_e32 v16, 0
	v_mov_b32_e32 v17, 0
	s_cmp_eq_u32 s20, 0
	s_cbranch_scc1 .LBB3_368
; %bb.366:                              ;   in Loop: Header=BB3_340 Depth=1
	s_mov_b64 s[16:17], 0
	s_mov_b64 s[18:19], 0
.LBB3_367:                              ;   Parent Loop BB3_340 Depth=1
                                        ; =>  This Inner Loop Header: Depth=2
	s_add_u32 s26, s4, s18
	s_addc_u32 s27, s5, s19
	s_add_u32 s18, s18, 1
	global_load_ubyte v4, v5, s[26:27]
	s_addc_u32 s19, s19, 0
	s_waitcnt vmcnt(0)
	v_and_b32_e32 v4, 0xffff, v4
	v_lshlrev_b64 v[18:19], s16, v[4:5]
	s_add_u32 s16, s16, 8
	s_addc_u32 s17, s17, 0
	s_cmp_lg_u32 s20, s18
	v_or_b32_e32 v16, v18, v16
	v_or_b32_e32 v17, v19, v17
	s_cbranch_scc1 .LBB3_367
.LBB3_368:                              ;   in Loop: Header=BB3_340 Depth=1
	s_mov_b32 s18, 0
	s_mov_b64 s[16:17], s[4:5]
	s_branch .LBB3_370
.LBB3_369:                              ;   in Loop: Header=BB3_340 Depth=1
	s_mov_b32 s18, -1
                                        ; implicit-def: $vgpr16_vgpr17
.LBB3_370:                              ;   in Loop: Header=BB3_340 Depth=1
	s_andn2_b32 vcc_lo, exec_lo, s18
	s_mov_b32 s25, 0
	s_cbranch_vccnz .LBB3_372
; %bb.371:                              ;   in Loop: Header=BB3_340 Depth=1
	global_load_dwordx2 v[16:17], v5, s[4:5]
	s_add_i32 s25, s20, -8
.LBB3_372:                              ;   in Loop: Header=BB3_340 Depth=1
	s_add_u32 s4, s16, 8
	s_addc_u32 s5, s17, 0
	s_cmp_gt_u32 s25, 7
	s_cbranch_scc1 .LBB3_377
; %bb.373:                              ;   in Loop: Header=BB3_340 Depth=1
	v_mov_b32_e32 v18, 0
	v_mov_b32_e32 v19, 0
	s_cmp_eq_u32 s25, 0
	s_cbranch_scc1 .LBB3_376
; %bb.374:                              ;   in Loop: Header=BB3_340 Depth=1
	s_mov_b64 s[4:5], 0
	s_mov_b64 s[18:19], 0
.LBB3_375:                              ;   Parent Loop BB3_340 Depth=1
                                        ; =>  This Inner Loop Header: Depth=2
	s_add_u32 s26, s16, s18
	s_addc_u32 s27, s17, s19
	s_add_u32 s18, s18, 1
	global_load_ubyte v4, v5, s[26:27]
	s_addc_u32 s19, s19, 0
	s_waitcnt vmcnt(0)
	v_and_b32_e32 v4, 0xffff, v4
	v_lshlrev_b64 v[20:21], s4, v[4:5]
	s_add_u32 s4, s4, 8
	s_addc_u32 s5, s5, 0
	s_cmp_lg_u32 s25, s18
	v_or_b32_e32 v18, v20, v18
	v_or_b32_e32 v19, v21, v19
	s_cbranch_scc1 .LBB3_375
.LBB3_376:                              ;   in Loop: Header=BB3_340 Depth=1
	s_mov_b32 s18, 0
	s_mov_b64 s[4:5], s[16:17]
	s_branch .LBB3_378
.LBB3_377:                              ;   in Loop: Header=BB3_340 Depth=1
	s_mov_b32 s18, -1
.LBB3_378:                              ;   in Loop: Header=BB3_340 Depth=1
	s_andn2_b32 vcc_lo, exec_lo, s18
	s_mov_b32 s20, 0
	s_cbranch_vccnz .LBB3_380
; %bb.379:                              ;   in Loop: Header=BB3_340 Depth=1
	global_load_dwordx2 v[18:19], v5, s[16:17]
	s_add_i32 s20, s25, -8
.LBB3_380:                              ;   in Loop: Header=BB3_340 Depth=1
	s_add_u32 s16, s4, 8
	s_addc_u32 s17, s5, 0
	s_cmp_gt_u32 s20, 7
	s_cbranch_scc1 .LBB3_385
; %bb.381:                              ;   in Loop: Header=BB3_340 Depth=1
	v_mov_b32_e32 v20, 0
	v_mov_b32_e32 v21, 0
	s_cmp_eq_u32 s20, 0
	s_cbranch_scc1 .LBB3_384
; %bb.382:                              ;   in Loop: Header=BB3_340 Depth=1
	s_mov_b64 s[16:17], 0
	s_mov_b64 s[18:19], 0
.LBB3_383:                              ;   Parent Loop BB3_340 Depth=1
                                        ; =>  This Inner Loop Header: Depth=2
	s_add_u32 s26, s4, s18
	s_addc_u32 s27, s5, s19
	s_add_u32 s18, s18, 1
	global_load_ubyte v4, v5, s[26:27]
	s_addc_u32 s19, s19, 0
	s_waitcnt vmcnt(0)
	v_and_b32_e32 v4, 0xffff, v4
	v_lshlrev_b64 v[22:23], s16, v[4:5]
	s_add_u32 s16, s16, 8
	s_addc_u32 s17, s17, 0
	s_cmp_lg_u32 s20, s18
	v_or_b32_e32 v20, v22, v20
	v_or_b32_e32 v21, v23, v21
	s_cbranch_scc1 .LBB3_383
.LBB3_384:                              ;   in Loop: Header=BB3_340 Depth=1
	s_mov_b32 s18, 0
	s_mov_b64 s[16:17], s[4:5]
	s_branch .LBB3_386
.LBB3_385:                              ;   in Loop: Header=BB3_340 Depth=1
	s_mov_b32 s18, -1
                                        ; implicit-def: $vgpr20_vgpr21
.LBB3_386:                              ;   in Loop: Header=BB3_340 Depth=1
	s_andn2_b32 vcc_lo, exec_lo, s18
	s_mov_b32 s25, 0
	s_cbranch_vccnz .LBB3_388
; %bb.387:                              ;   in Loop: Header=BB3_340 Depth=1
	global_load_dwordx2 v[20:21], v5, s[4:5]
	s_add_i32 s25, s20, -8
.LBB3_388:                              ;   in Loop: Header=BB3_340 Depth=1
	s_cmp_gt_u32 s25, 7
	s_cbranch_scc1 .LBB3_393
; %bb.389:                              ;   in Loop: Header=BB3_340 Depth=1
	v_mov_b32_e32 v22, 0
	v_mov_b32_e32 v23, 0
	s_cmp_eq_u32 s25, 0
	s_cbranch_scc1 .LBB3_392
; %bb.390:                              ;   in Loop: Header=BB3_340 Depth=1
	s_mov_b64 s[4:5], 0
	s_mov_b64 s[18:19], s[16:17]
.LBB3_391:                              ;   Parent Loop BB3_340 Depth=1
                                        ; =>  This Inner Loop Header: Depth=2
	global_load_ubyte v4, v5, s[18:19]
	s_add_i32 s25, s25, -1
	s_waitcnt vmcnt(0)
	v_and_b32_e32 v4, 0xffff, v4
	v_lshlrev_b64 v[24:25], s4, v[4:5]
	s_add_u32 s4, s4, 8
	s_addc_u32 s5, s5, 0
	s_add_u32 s18, s18, 1
	s_addc_u32 s19, s19, 0
	s_cmp_lg_u32 s25, 0
	v_or_b32_e32 v22, v24, v22
	v_or_b32_e32 v23, v25, v23
	s_cbranch_scc1 .LBB3_391
.LBB3_392:                              ;   in Loop: Header=BB3_340 Depth=1
	s_mov_b32 s4, 0
	s_branch .LBB3_394
.LBB3_393:                              ;   in Loop: Header=BB3_340 Depth=1
	s_mov_b32 s4, -1
.LBB3_394:                              ;   in Loop: Header=BB3_340 Depth=1
	s_andn2_b32 vcc_lo, exec_lo, s4
	s_cbranch_vccnz .LBB3_396
; %bb.395:                              ;   in Loop: Header=BB3_340 Depth=1
	global_load_dwordx2 v[22:23], v5, s[16:17]
.LBB3_396:                              ;   in Loop: Header=BB3_340 Depth=1
	v_readfirstlane_b32 s4, v31
	v_mov_b32_e32 v28, 0
	v_mov_b32_e32 v29, 0
	v_cmp_eq_u32_e64 s4, s4, v31
	s_and_saveexec_b32 s5, s4
	s_cbranch_execz .LBB3_402
; %bb.397:                              ;   in Loop: Header=BB3_340 Depth=1
	global_load_dwordx2 v[26:27], v5, s[6:7] offset:24 glc dlc
	s_waitcnt vmcnt(0)
	buffer_gl1_inv
	buffer_gl0_inv
	s_clause 0x1
	global_load_dwordx2 v[24:25], v5, s[6:7] offset:40
	global_load_dwordx2 v[28:29], v5, s[6:7]
	s_mov_b32 s16, exec_lo
	s_waitcnt vmcnt(1)
	v_and_b32_e32 v4, v25, v27
	v_and_b32_e32 v24, v24, v26
	v_mul_lo_u32 v4, v4, 24
	v_mul_hi_u32 v25, v24, 24
	v_mul_lo_u32 v24, v24, 24
	v_add_nc_u32_e32 v4, v25, v4
	s_waitcnt vmcnt(0)
	v_add_co_u32 v24, vcc_lo, v28, v24
	v_add_co_ci_u32_e64 v25, null, v29, v4, vcc_lo
	global_load_dwordx2 v[24:25], v[24:25], off glc dlc
	s_waitcnt vmcnt(0)
	global_atomic_cmpswap_x2 v[28:29], v5, v[24:27], s[6:7] offset:24 glc
	s_waitcnt vmcnt(0)
	buffer_gl1_inv
	buffer_gl0_inv
	v_cmpx_ne_u64_e64 v[28:29], v[26:27]
	s_cbranch_execz .LBB3_401
; %bb.398:                              ;   in Loop: Header=BB3_340 Depth=1
	s_mov_b32 s17, 0
	.p2align	6
.LBB3_399:                              ;   Parent Loop BB3_340 Depth=1
                                        ; =>  This Inner Loop Header: Depth=2
	s_sleep 1
	s_clause 0x1
	global_load_dwordx2 v[24:25], v5, s[6:7] offset:40
	global_load_dwordx2 v[32:33], v5, s[6:7]
	v_mov_b32_e32 v26, v28
	v_mov_b32_e32 v27, v29
	s_waitcnt vmcnt(1)
	v_and_b32_e32 v4, v24, v26
	v_and_b32_e32 v24, v25, v27
	s_waitcnt vmcnt(0)
	v_mad_u64_u32 v[28:29], null, v4, 24, v[32:33]
	v_mov_b32_e32 v4, v29
	v_mad_u64_u32 v[24:25], null, v24, 24, v[4:5]
	v_mov_b32_e32 v29, v24
	global_load_dwordx2 v[24:25], v[28:29], off glc dlc
	s_waitcnt vmcnt(0)
	global_atomic_cmpswap_x2 v[28:29], v5, v[24:27], s[6:7] offset:24 glc
	s_waitcnt vmcnt(0)
	buffer_gl1_inv
	buffer_gl0_inv
	v_cmp_eq_u64_e32 vcc_lo, v[28:29], v[26:27]
	s_or_b32 s17, vcc_lo, s17
	s_andn2_b32 exec_lo, exec_lo, s17
	s_cbranch_execnz .LBB3_399
; %bb.400:                              ;   in Loop: Header=BB3_340 Depth=1
	s_or_b32 exec_lo, exec_lo, s17
.LBB3_401:                              ;   in Loop: Header=BB3_340 Depth=1
	s_or_b32 exec_lo, exec_lo, s16
.LBB3_402:                              ;   in Loop: Header=BB3_340 Depth=1
	s_or_b32 exec_lo, exec_lo, s5
	s_clause 0x1
	global_load_dwordx2 v[32:33], v5, s[6:7] offset:40
	global_load_dwordx4 v[24:27], v5, s[6:7]
	v_readfirstlane_b32 s17, v29
	v_readfirstlane_b32 s16, v28
	s_mov_b32 s5, exec_lo
	s_waitcnt vmcnt(1)
	v_readfirstlane_b32 s18, v32
	v_readfirstlane_b32 s19, v33
	s_and_b64 s[18:19], s[18:19], s[16:17]
	s_mul_i32 s20, s19, 24
	s_mul_hi_u32 s25, s18, 24
	s_mul_i32 s26, s18, 24
	s_add_i32 s25, s25, s20
	s_waitcnt vmcnt(0)
	v_add_co_u32 v28, vcc_lo, v24, s26
	v_add_co_ci_u32_e64 v29, null, s25, v25, vcc_lo
	s_and_saveexec_b32 s20, s4
	s_cbranch_execz .LBB3_404
; %bb.403:                              ;   in Loop: Header=BB3_340 Depth=1
	v_mov_b32_e32 v4, s5
	global_store_dwordx4 v[28:29], v[4:7], off offset:8
.LBB3_404:                              ;   in Loop: Header=BB3_340 Depth=1
	s_or_b32 exec_lo, exec_lo, s20
	v_cmp_gt_u64_e64 s5, s[12:13], 56
	s_lshl_b64 s[18:19], s[18:19], 12
	v_and_b32_e32 v4, 0xffffff1f, v8
	v_add_co_u32 v26, vcc_lo, v26, s18
	v_add_co_ci_u32_e64 v27, null, s19, v27, vcc_lo
	s_and_b32 s5, s5, exec_lo
	s_cselect_b32 s5, 0, 2
	s_lshl_b32 s20, s14, 2
	v_or_b32_e32 v4, s5, v4
	v_readfirstlane_b32 s18, v26
	v_readfirstlane_b32 s19, v27
	s_add_i32 s20, s20, 28
	v_and_or_b32 v8, 0x1e0, s20, v4
	global_store_dwordx4 v30, v[12:15], s[18:19] offset:16
	global_store_dwordx4 v30, v[16:19], s[18:19] offset:32
	global_store_dwordx4 v30, v[8:11], s[18:19]
	global_store_dwordx4 v30, v[20:23], s[18:19] offset:48
	s_and_saveexec_b32 s5, s4
	s_cbranch_execz .LBB3_412
; %bb.405:                              ;   in Loop: Header=BB3_340 Depth=1
	s_clause 0x1
	global_load_dwordx2 v[16:17], v5, s[6:7] offset:32 glc dlc
	global_load_dwordx2 v[8:9], v5, s[6:7] offset:40
	v_mov_b32_e32 v14, s16
	v_mov_b32_e32 v15, s17
	s_waitcnt vmcnt(0)
	v_readfirstlane_b32 s18, v8
	v_readfirstlane_b32 s19, v9
	s_and_b64 s[18:19], s[18:19], s[16:17]
	s_mul_i32 s19, s19, 24
	s_mul_hi_u32 s20, s18, 24
	s_mul_i32 s18, s18, 24
	s_add_i32 s20, s20, s19
	v_add_co_u32 v12, vcc_lo, v24, s18
	v_add_co_ci_u32_e64 v13, null, s20, v25, vcc_lo
	s_mov_b32 s18, exec_lo
	global_store_dwordx2 v[12:13], v[16:17], off
	s_waitcnt_vscnt null, 0x0
	global_atomic_cmpswap_x2 v[10:11], v5, v[14:17], s[6:7] offset:32 glc
	s_waitcnt vmcnt(0)
	v_cmpx_ne_u64_e64 v[10:11], v[16:17]
	s_cbranch_execz .LBB3_408
; %bb.406:                              ;   in Loop: Header=BB3_340 Depth=1
	s_mov_b32 s19, 0
.LBB3_407:                              ;   Parent Loop BB3_340 Depth=1
                                        ; =>  This Inner Loop Header: Depth=2
	v_mov_b32_e32 v8, s16
	v_mov_b32_e32 v9, s17
	s_sleep 1
	global_store_dwordx2 v[12:13], v[10:11], off
	s_waitcnt_vscnt null, 0x0
	global_atomic_cmpswap_x2 v[8:9], v5, v[8:11], s[6:7] offset:32 glc
	s_waitcnt vmcnt(0)
	v_cmp_eq_u64_e32 vcc_lo, v[8:9], v[10:11]
	v_mov_b32_e32 v11, v9
	v_mov_b32_e32 v10, v8
	s_or_b32 s19, vcc_lo, s19
	s_andn2_b32 exec_lo, exec_lo, s19
	s_cbranch_execnz .LBB3_407
.LBB3_408:                              ;   in Loop: Header=BB3_340 Depth=1
	s_or_b32 exec_lo, exec_lo, s18
	global_load_dwordx2 v[8:9], v5, s[6:7] offset:16
	s_mov_b32 s19, exec_lo
	s_mov_b32 s18, exec_lo
	v_mbcnt_lo_u32_b32 v4, s19, 0
	v_cmpx_eq_u32_e32 0, v4
	s_cbranch_execz .LBB3_410
; %bb.409:                              ;   in Loop: Header=BB3_340 Depth=1
	s_bcnt1_i32_b32 s19, s19
	v_mov_b32_e32 v4, s19
	s_waitcnt vmcnt(0)
	global_atomic_add_x2 v[8:9], v[4:5], off offset:8
.LBB3_410:                              ;   in Loop: Header=BB3_340 Depth=1
	s_or_b32 exec_lo, exec_lo, s18
	s_waitcnt vmcnt(0)
	global_load_dwordx2 v[10:11], v[8:9], off offset:16
	s_waitcnt vmcnt(0)
	v_cmp_eq_u64_e32 vcc_lo, 0, v[10:11]
	s_cbranch_vccnz .LBB3_412
; %bb.411:                              ;   in Loop: Header=BB3_340 Depth=1
	global_load_dword v4, v[8:9], off offset:24
	s_waitcnt vmcnt(0)
	v_readfirstlane_b32 s18, v4
	s_waitcnt_vscnt null, 0x0
	global_store_dwordx2 v[10:11], v[4:5], off
	s_and_b32 m0, s18, 0x7fffff
	s_sendmsg sendmsg(MSG_INTERRUPT)
.LBB3_412:                              ;   in Loop: Header=BB3_340 Depth=1
	s_or_b32 exec_lo, exec_lo, s5
	v_add_co_u32 v8, vcc_lo, v26, v30
	v_add_co_ci_u32_e64 v9, null, 0, v27, vcc_lo
	s_branch .LBB3_416
	.p2align	6
.LBB3_413:                              ;   in Loop: Header=BB3_416 Depth=2
	s_or_b32 exec_lo, exec_lo, s5
	v_readfirstlane_b32 s5, v4
	s_cmp_eq_u32 s5, 0
	s_cbranch_scc1 .LBB3_415
; %bb.414:                              ;   in Loop: Header=BB3_416 Depth=2
	s_sleep 1
	s_cbranch_execnz .LBB3_416
	s_branch .LBB3_418
	.p2align	6
.LBB3_415:                              ;   in Loop: Header=BB3_340 Depth=1
	s_branch .LBB3_418
.LBB3_416:                              ;   Parent Loop BB3_340 Depth=1
                                        ; =>  This Inner Loop Header: Depth=2
	v_mov_b32_e32 v4, 1
	s_and_saveexec_b32 s5, s4
	s_cbranch_execz .LBB3_413
; %bb.417:                              ;   in Loop: Header=BB3_416 Depth=2
	global_load_dword v4, v[28:29], off offset:20 glc dlc
	s_waitcnt vmcnt(0)
	buffer_gl1_inv
	buffer_gl0_inv
	v_and_b32_e32 v4, 1, v4
	s_branch .LBB3_413
.LBB3_418:                              ;   in Loop: Header=BB3_340 Depth=1
	global_load_dwordx4 v[8:11], v[8:9], off
	s_and_saveexec_b32 s18, s4
	s_cbranch_execz .LBB3_339
; %bb.419:                              ;   in Loop: Header=BB3_340 Depth=1
	s_clause 0x2
	global_load_dwordx2 v[10:11], v5, s[6:7] offset:40
	global_load_dwordx2 v[18:19], v5, s[6:7] offset:24 glc dlc
	global_load_dwordx2 v[12:13], v5, s[6:7]
	s_waitcnt vmcnt(2)
	v_readfirstlane_b32 s26, v10
	v_readfirstlane_b32 s27, v11
	s_add_u32 s19, s26, 1
	s_addc_u32 s20, s27, 0
	s_add_u32 s4, s19, s16
	s_addc_u32 s5, s20, s17
	s_cmp_eq_u64 s[4:5], 0
	s_cselect_b32 s5, s20, s5
	s_cselect_b32 s4, s19, s4
	v_mov_b32_e32 v17, s5
	s_and_b64 s[16:17], s[4:5], s[26:27]
	v_mov_b32_e32 v16, s4
	s_mul_i32 s17, s17, 24
	s_mul_hi_u32 s19, s16, 24
	s_mul_i32 s16, s16, 24
	s_add_i32 s19, s19, s17
	s_waitcnt vmcnt(0)
	v_add_co_u32 v14, vcc_lo, v12, s16
	v_add_co_ci_u32_e64 v15, null, s19, v13, vcc_lo
	global_store_dwordx2 v[14:15], v[18:19], off
	s_waitcnt_vscnt null, 0x0
	global_atomic_cmpswap_x2 v[12:13], v5, v[16:19], s[6:7] offset:24 glc
	s_waitcnt vmcnt(0)
	v_cmp_ne_u64_e32 vcc_lo, v[12:13], v[18:19]
	s_and_b32 exec_lo, exec_lo, vcc_lo
	s_cbranch_execz .LBB3_339
; %bb.420:                              ;   in Loop: Header=BB3_340 Depth=1
	s_mov_b32 s16, 0
.LBB3_421:                              ;   Parent Loop BB3_340 Depth=1
                                        ; =>  This Inner Loop Header: Depth=2
	v_mov_b32_e32 v10, s4
	v_mov_b32_e32 v11, s5
	s_sleep 1
	global_store_dwordx2 v[14:15], v[12:13], off
	s_waitcnt_vscnt null, 0x0
	global_atomic_cmpswap_x2 v[10:11], v5, v[10:13], s[6:7] offset:24 glc
	s_waitcnt vmcnt(0)
	v_cmp_eq_u64_e32 vcc_lo, v[10:11], v[12:13]
	v_mov_b32_e32 v13, v11
	v_mov_b32_e32 v12, v10
	s_or_b32 s16, vcc_lo, s16
	s_andn2_b32 exec_lo, exec_lo, s16
	s_cbranch_execnz .LBB3_421
	s_branch .LBB3_339
.LBB3_422:
	s_mov_b32 s4, 0
	s_branch .LBB3_424
.LBB3_423:
	s_mov_b32 s4, -1
.LBB3_424:
	v_mov_b32_e32 v65, v1
	v_mov_b32_e32 v66, v0
	s_and_b32 vcc_lo, exec_lo, s4
	s_cbranch_vccz .LBB3_452
; %bb.425:
	v_readfirstlane_b32 s4, v31
	v_mov_b32_e32 v0, 0
	v_mov_b32_e32 v1, 0
	v_cmp_eq_u32_e64 s4, s4, v31
	s_and_saveexec_b32 s5, s4
	s_cbranch_execz .LBB3_431
; %bb.426:
	v_mov_b32_e32 v4, 0
	s_mov_b32 s10, exec_lo
	global_load_dwordx2 v[7:8], v4, s[6:7] offset:24 glc dlc
	s_waitcnt vmcnt(0)
	buffer_gl1_inv
	buffer_gl0_inv
	s_clause 0x1
	global_load_dwordx2 v[0:1], v4, s[6:7] offset:40
	global_load_dwordx2 v[5:6], v4, s[6:7]
	s_waitcnt vmcnt(1)
	v_and_b32_e32 v1, v1, v8
	v_and_b32_e32 v0, v0, v7
	v_mul_lo_u32 v1, v1, 24
	v_mul_hi_u32 v9, v0, 24
	v_mul_lo_u32 v0, v0, 24
	v_add_nc_u32_e32 v1, v9, v1
	s_waitcnt vmcnt(0)
	v_add_co_u32 v0, vcc_lo, v5, v0
	v_add_co_ci_u32_e64 v1, null, v6, v1, vcc_lo
	global_load_dwordx2 v[5:6], v[0:1], off glc dlc
	s_waitcnt vmcnt(0)
	global_atomic_cmpswap_x2 v[0:1], v4, v[5:8], s[6:7] offset:24 glc
	s_waitcnt vmcnt(0)
	buffer_gl1_inv
	buffer_gl0_inv
	v_cmpx_ne_u64_e64 v[0:1], v[7:8]
	s_cbranch_execz .LBB3_430
; %bb.427:
	s_mov_b32 s11, 0
.LBB3_428:                              ; =>This Inner Loop Header: Depth=1
	s_sleep 1
	s_clause 0x1
	global_load_dwordx2 v[5:6], v4, s[6:7] offset:40
	global_load_dwordx2 v[9:10], v4, s[6:7]
	v_mov_b32_e32 v8, v1
	v_mov_b32_e32 v7, v0
	s_waitcnt vmcnt(1)
	v_and_b32_e32 v0, v5, v7
	v_and_b32_e32 v5, v6, v8
	s_waitcnt vmcnt(0)
	v_mad_u64_u32 v[0:1], null, v0, 24, v[9:10]
	v_mad_u64_u32 v[5:6], null, v5, 24, v[1:2]
	v_mov_b32_e32 v1, v5
	global_load_dwordx2 v[5:6], v[0:1], off glc dlc
	s_waitcnt vmcnt(0)
	global_atomic_cmpswap_x2 v[0:1], v4, v[5:8], s[6:7] offset:24 glc
	s_waitcnt vmcnt(0)
	buffer_gl1_inv
	buffer_gl0_inv
	v_cmp_eq_u64_e32 vcc_lo, v[0:1], v[7:8]
	s_or_b32 s11, vcc_lo, s11
	s_andn2_b32 exec_lo, exec_lo, s11
	s_cbranch_execnz .LBB3_428
; %bb.429:
	s_or_b32 exec_lo, exec_lo, s11
.LBB3_430:
	s_or_b32 exec_lo, exec_lo, s10
.LBB3_431:
	s_or_b32 exec_lo, exec_lo, s5
	v_mov_b32_e32 v4, 0
	v_readfirstlane_b32 s11, v1
	v_readfirstlane_b32 s10, v0
	s_mov_b32 s5, exec_lo
	s_clause 0x1
	global_load_dwordx2 v[10:11], v4, s[6:7] offset:40
	global_load_dwordx4 v[6:9], v4, s[6:7]
	s_waitcnt vmcnt(1)
	v_readfirstlane_b32 s12, v10
	v_readfirstlane_b32 s13, v11
	s_and_b64 s[12:13], s[12:13], s[10:11]
	s_mul_i32 s14, s13, 24
	s_mul_hi_u32 s15, s12, 24
	s_mul_i32 s16, s12, 24
	s_add_i32 s15, s15, s14
	s_waitcnt vmcnt(0)
	v_add_co_u32 v10, vcc_lo, v6, s16
	v_add_co_ci_u32_e64 v11, null, s15, v7, vcc_lo
	s_and_saveexec_b32 s14, s4
	s_cbranch_execz .LBB3_433
; %bb.432:
	v_mov_b32_e32 v12, s5
	v_mov_b32_e32 v13, v4
	;; [unrolled: 1-line block ×4, first 2 shown]
	global_store_dwordx4 v[10:11], v[12:15], off offset:8
.LBB3_433:
	s_or_b32 exec_lo, exec_lo, s14
	s_lshl_b64 s[12:13], s[12:13], 12
	v_and_or_b32 v2, 0xffffff1d, v2, 34
	v_add_co_u32 v0, vcc_lo, v8, s12
	v_add_co_ci_u32_e64 v1, null, s13, v9, vcc_lo
	s_mov_b32 s12, 0
	v_mov_b32_e32 v5, v4
	s_mov_b32 s13, s12
	s_mov_b32 s14, s12
	;; [unrolled: 1-line block ×3, first 2 shown]
	v_readfirstlane_b32 s16, v0
	v_readfirstlane_b32 s17, v1
	v_mov_b32_e32 v12, s12
	v_mov_b32_e32 v13, s13
	;; [unrolled: 1-line block ×4, first 2 shown]
	global_store_dwordx4 v30, v[2:5], s[16:17]
	global_store_dwordx4 v30, v[12:15], s[16:17] offset:16
	global_store_dwordx4 v30, v[12:15], s[16:17] offset:32
	;; [unrolled: 1-line block ×3, first 2 shown]
	s_and_saveexec_b32 s5, s4
	s_cbranch_execz .LBB3_441
; %bb.434:
	v_mov_b32_e32 v8, 0
	v_mov_b32_e32 v12, s10
	;; [unrolled: 1-line block ×3, first 2 shown]
	s_clause 0x1
	global_load_dwordx2 v[14:15], v8, s[6:7] offset:32 glc dlc
	global_load_dwordx2 v[0:1], v8, s[6:7] offset:40
	s_waitcnt vmcnt(0)
	v_readfirstlane_b32 s12, v0
	v_readfirstlane_b32 s13, v1
	s_and_b64 s[12:13], s[12:13], s[10:11]
	s_mul_i32 s13, s13, 24
	s_mul_hi_u32 s14, s12, 24
	s_mul_i32 s12, s12, 24
	s_add_i32 s14, s14, s13
	v_add_co_u32 v4, vcc_lo, v6, s12
	v_add_co_ci_u32_e64 v5, null, s14, v7, vcc_lo
	s_mov_b32 s12, exec_lo
	global_store_dwordx2 v[4:5], v[14:15], off
	s_waitcnt_vscnt null, 0x0
	global_atomic_cmpswap_x2 v[2:3], v8, v[12:15], s[6:7] offset:32 glc
	s_waitcnt vmcnt(0)
	v_cmpx_ne_u64_e64 v[2:3], v[14:15]
	s_cbranch_execz .LBB3_437
; %bb.435:
	s_mov_b32 s13, 0
.LBB3_436:                              ; =>This Inner Loop Header: Depth=1
	v_mov_b32_e32 v0, s10
	v_mov_b32_e32 v1, s11
	s_sleep 1
	global_store_dwordx2 v[4:5], v[2:3], off
	s_waitcnt_vscnt null, 0x0
	global_atomic_cmpswap_x2 v[0:1], v8, v[0:3], s[6:7] offset:32 glc
	s_waitcnt vmcnt(0)
	v_cmp_eq_u64_e32 vcc_lo, v[0:1], v[2:3]
	v_mov_b32_e32 v3, v1
	v_mov_b32_e32 v2, v0
	s_or_b32 s13, vcc_lo, s13
	s_andn2_b32 exec_lo, exec_lo, s13
	s_cbranch_execnz .LBB3_436
.LBB3_437:
	s_or_b32 exec_lo, exec_lo, s12
	v_mov_b32_e32 v3, 0
	s_mov_b32 s13, exec_lo
	s_mov_b32 s12, exec_lo
	v_mbcnt_lo_u32_b32 v2, s13, 0
	global_load_dwordx2 v[0:1], v3, s[6:7] offset:16
	v_cmpx_eq_u32_e32 0, v2
	s_cbranch_execz .LBB3_439
; %bb.438:
	s_bcnt1_i32_b32 s13, s13
	v_mov_b32_e32 v2, s13
	s_waitcnt vmcnt(0)
	global_atomic_add_x2 v[0:1], v[2:3], off offset:8
.LBB3_439:
	s_or_b32 exec_lo, exec_lo, s12
	s_waitcnt vmcnt(0)
	global_load_dwordx2 v[2:3], v[0:1], off offset:16
	s_waitcnt vmcnt(0)
	v_cmp_eq_u64_e32 vcc_lo, 0, v[2:3]
	s_cbranch_vccnz .LBB3_441
; %bb.440:
	global_load_dword v0, v[0:1], off offset:24
	v_mov_b32_e32 v1, 0
	s_waitcnt vmcnt(0)
	v_readfirstlane_b32 s12, v0
	s_waitcnt_vscnt null, 0x0
	global_store_dwordx2 v[2:3], v[0:1], off
	s_and_b32 m0, s12, 0x7fffff
	s_sendmsg sendmsg(MSG_INTERRUPT)
.LBB3_441:
	s_or_b32 exec_lo, exec_lo, s5
	s_branch .LBB3_445
.LBB3_442:                              ;   in Loop: Header=BB3_445 Depth=1
	s_or_b32 exec_lo, exec_lo, s5
	v_readfirstlane_b32 s5, v0
	s_cmp_eq_u32 s5, 0
	s_cbranch_scc1 .LBB3_444
; %bb.443:                              ;   in Loop: Header=BB3_445 Depth=1
	s_sleep 1
	s_cbranch_execnz .LBB3_445
	s_branch .LBB3_447
.LBB3_444:
	s_branch .LBB3_447
.LBB3_445:                              ; =>This Inner Loop Header: Depth=1
	v_mov_b32_e32 v0, 1
	s_and_saveexec_b32 s5, s4
	s_cbranch_execz .LBB3_442
; %bb.446:                              ;   in Loop: Header=BB3_445 Depth=1
	global_load_dword v0, v[10:11], off offset:20 glc dlc
	s_waitcnt vmcnt(0)
	buffer_gl1_inv
	buffer_gl0_inv
	v_and_b32_e32 v0, 1, v0
	s_branch .LBB3_442
.LBB3_447:
	s_and_saveexec_b32 s12, s4
	s_cbranch_execz .LBB3_451
; %bb.448:
	v_mov_b32_e32 v6, 0
	s_clause 0x2
	global_load_dwordx2 v[0:1], v6, s[6:7] offset:40
	global_load_dwordx2 v[9:10], v6, s[6:7] offset:24 glc dlc
	global_load_dwordx2 v[2:3], v6, s[6:7]
	s_waitcnt vmcnt(2)
	v_readfirstlane_b32 s14, v0
	v_readfirstlane_b32 s15, v1
	s_add_u32 s13, s14, 1
	s_addc_u32 s16, s15, 0
	s_add_u32 s4, s13, s10
	s_addc_u32 s5, s16, s11
	s_cmp_eq_u64 s[4:5], 0
	s_cselect_b32 s5, s16, s5
	s_cselect_b32 s4, s13, s4
	v_mov_b32_e32 v8, s5
	s_and_b64 s[10:11], s[4:5], s[14:15]
	v_mov_b32_e32 v7, s4
	s_mul_i32 s11, s11, 24
	s_mul_hi_u32 s13, s10, 24
	s_mul_i32 s10, s10, 24
	s_add_i32 s13, s13, s11
	s_waitcnt vmcnt(0)
	v_add_co_u32 v4, vcc_lo, v2, s10
	v_add_co_ci_u32_e64 v5, null, s13, v3, vcc_lo
	global_store_dwordx2 v[4:5], v[9:10], off
	s_waitcnt_vscnt null, 0x0
	global_atomic_cmpswap_x2 v[2:3], v6, v[7:10], s[6:7] offset:24 glc
	s_waitcnt vmcnt(0)
	v_cmp_ne_u64_e32 vcc_lo, v[2:3], v[9:10]
	s_and_b32 exec_lo, exec_lo, vcc_lo
	s_cbranch_execz .LBB3_451
; %bb.449:
	s_mov_b32 s10, 0
.LBB3_450:                              ; =>This Inner Loop Header: Depth=1
	v_mov_b32_e32 v0, s4
	v_mov_b32_e32 v1, s5
	s_sleep 1
	global_store_dwordx2 v[4:5], v[2:3], off
	s_waitcnt_vscnt null, 0x0
	global_atomic_cmpswap_x2 v[0:1], v6, v[0:3], s[6:7] offset:24 glc
	s_waitcnt vmcnt(0)
	v_cmp_eq_u64_e32 vcc_lo, v[0:1], v[2:3]
	v_mov_b32_e32 v3, v1
	v_mov_b32_e32 v2, v0
	s_or_b32 s10, vcc_lo, s10
	s_andn2_b32 exec_lo, exec_lo, s10
	s_cbranch_execnz .LBB3_450
.LBB3_451:
	s_or_b32 exec_lo, exec_lo, s12
.LBB3_452:
	s_getpc_b64 s[4:5]
	s_add_u32 s4, s4, .str.29@rel32@lo+4
	s_addc_u32 s5, s5, .str.29@rel32@hi+12
	s_getpc_b64 s[6:7]
	s_add_u32 s6, s6, .str.19@rel32@lo+4
	s_addc_u32 s7, s7, .str.19@rel32@hi+12
	s_getpc_b64 s[10:11]
	s_add_u32 s10, s10, __PRETTY_FUNCTION__._ZN7VecsMemIjLi8192EE5fetchEi@rel32@lo+4
	s_addc_u32 s11, s11, __PRETTY_FUNCTION__._ZN7VecsMemIjLi8192EE5fetchEi@rel32@hi+12
	v_mov_b32_e32 v0, s4
	v_mov_b32_e32 v1, s5
	s_waitcnt vmcnt(0)
	v_mov_b32_e32 v2, s6
	v_mov_b32_e32 v3, s7
	;; [unrolled: 1-line block ×5, first 2 shown]
	s_getpc_b64 s[12:13]
	s_add_u32 s12, s12, __assert_fail@rel32@lo+4
	s_addc_u32 s13, s13, __assert_fail@rel32@hi+12
	s_swappc_b64 s[30:31], s[12:13]
	v_mov_b32_e32 v0, v66
	v_mov_b32_e32 v1, v65
	s_or_b32 s4, s70, exec_lo
.LBB3_453:
	s_or_b32 exec_lo, exec_lo, s24
	s_andn2_b32 s5, s70, exec_lo
	s_and_b32 s4, s4, exec_lo
	s_or_b32 s24, s5, s4
	s_orn2_b32 s4, s23, exec_lo
.LBB3_454:
	s_or_b32 exec_lo, exec_lo, s22
	s_and_saveexec_b32 s22, s4
	s_mov_b64 s[8:9], s[34:35]
	s_cbranch_execz .LBB3_487
; %bb.455:
	s_mov_b32 s23, 0
	s_mov_b32 s25, s24
	flat_store_dwordx2 v[45:46], v[52:53] offset:8
	s_mov_b32 s4, exec_lo
	v_cmpx_ne_u64_e32 0, v[52:53]
	s_xor_b32 s21, exec_lo, s4
	s_cbranch_execz .LBB3_484
; %bb.456:
	v_mov_b32_e32 v2, 0
	v_lshlrev_b32_e32 v6, 1, v63
	s_mov_b32 s5, exec_lo
	v_cmpx_lt_i32_e32 0, v64
	s_cbranch_execz .LBB3_460
; %bb.457:
	s_clause 0x1
	buffer_load_dword v2, off, s[0:3], s33 offset:104
	buffer_load_dword v3, off, s[0:3], s33 offset:108
	v_mov_b32_e32 v4, v52
	v_lshlrev_b32_e64 v7, v6, 1
	v_mov_b32_e32 v5, v53
	v_mov_b32_e32 v8, v64
	s_mov_b32 s6, 0
.LBB3_458:                              ; =>This Inner Loop Header: Depth=1
	s_waitcnt vmcnt(0)
	flat_load_dword v9, v[2:3]
	v_add_nc_u32_e32 v8, -1, v8
	v_add_co_u32 v2, vcc_lo, v2, 4
	v_add_co_ci_u32_e64 v3, null, 0, v3, vcc_lo
	v_cmp_eq_u32_e32 vcc_lo, 0, v8
	s_or_b32 s6, vcc_lo, s6
	s_waitcnt vmcnt(0) lgkmcnt(0)
	v_or_b32_e32 v9, v9, v7
	flat_store_dword v[4:5], v9
	v_add_co_u32 v4, s4, v4, 4
	v_add_co_ci_u32_e64 v5, null, 0, v5, s4
	s_andn2_b32 exec_lo, exec_lo, s6
	s_cbranch_execnz .LBB3_458
; %bb.459:
	s_or_b32 exec_lo, exec_lo, s6
	v_mov_b32_e32 v2, v64
.LBB3_460:
	s_or_b32 exec_lo, exec_lo, s5
	s_mov_b32 s6, 0
	s_mov_b32 s5, exec_lo
	v_cmpx_lt_i32_e32 0, v55
	s_cbranch_execz .LBB3_464
; %bb.461:
	s_clause 0x1
	buffer_load_dword v4, off, s[0:3], s33 offset:120
	buffer_load_dword v5, off, s[0:3], s33 offset:124
	v_mov_b32_e32 v3, 0
	v_lshlrev_b64 v[7:8], 2, v[2:3]
	v_lshlrev_b32_e64 v3, v6, 2
	v_add_nc_u32_e32 v2, v55, v2
	v_add_co_u32 v6, vcc_lo, v52, v7
	v_add_co_ci_u32_e64 v7, null, v53, v8, vcc_lo
.LBB3_462:                              ; =>This Inner Loop Header: Depth=1
	s_waitcnt vmcnt(0)
	flat_load_dword v8, v[4:5]
	v_add_nc_u32_e32 v55, -1, v55
	v_add_co_u32 v4, vcc_lo, v4, 4
	v_add_co_ci_u32_e64 v5, null, 0, v5, vcc_lo
	v_cmp_eq_u32_e32 vcc_lo, 0, v55
	s_or_b32 s6, vcc_lo, s6
	s_waitcnt vmcnt(0) lgkmcnt(0)
	v_or_b32_e32 v8, v8, v3
	flat_store_dword v[6:7], v8
	v_add_co_u32 v6, s4, v6, 4
	v_add_co_ci_u32_e64 v7, null, 0, v7, s4
	s_andn2_b32 exec_lo, exec_lo, s6
	s_cbranch_execnz .LBB3_462
; %bb.463:
	s_or_b32 exec_lo, exec_lo, s6
.LBB3_464:
	s_or_b32 exec_lo, exec_lo, s5
	s_mov_b32 s6, 0
	s_mov_b32 s5, exec_lo
	v_cmpx_lt_i32_e32 0, v54
	s_cbranch_execz .LBB3_468
; %bb.465:
	s_clause 0x1
	buffer_load_dword v4, off, s[0:3], s33 offset:136
	buffer_load_dword v5, off, s[0:3], s33 offset:140
	v_mov_b32_e32 v3, 0
	v_lshlrev_b64 v[6:7], 2, v[2:3]
	v_add_nc_u32_e32 v2, v2, v54
	v_add_co_u32 v6, vcc_lo, v52, v6
	v_add_co_ci_u32_e64 v7, null, v53, v7, vcc_lo
.LBB3_466:                              ; =>This Inner Loop Header: Depth=1
	s_waitcnt vmcnt(0)
	flat_load_dword v3, v[4:5]
	v_add_nc_u32_e32 v54, -1, v54
	v_add_co_u32 v4, vcc_lo, v4, 4
	v_add_co_ci_u32_e64 v5, null, 0, v5, vcc_lo
	v_cmp_eq_u32_e32 vcc_lo, 0, v54
	s_or_b32 s6, vcc_lo, s6
	s_waitcnt vmcnt(0) lgkmcnt(0)
	flat_store_dword v[6:7], v3
	v_add_co_u32 v6, s4, v6, 4
	v_add_co_ci_u32_e64 v7, null, 0, v7, s4
	s_andn2_b32 exec_lo, exec_lo, s6
	s_cbranch_execnz .LBB3_466
; %bb.467:
	s_or_b32 exec_lo, exec_lo, s6
.LBB3_468:
	s_or_b32 exec_lo, exec_lo, s5
	flat_load_dword v3, v[45:46] offset:4
	s_mov_b32 s6, s24
	s_mov_b32 s4, exec_lo
	s_waitcnt vmcnt(0) lgkmcnt(0)
	v_cmpx_ne_u32_e64 v2, v3
	s_xor_b32 s23, exec_lo, s4
	s_cbranch_execz .LBB3_470
; %bb.469:
	s_getpc_b64 s[4:5]
	s_add_u32 s4, s4, .str.23@rel32@lo+4
	s_addc_u32 s5, s5, .str.23@rel32@hi+12
	s_getpc_b64 s[6:7]
	s_add_u32 s6, s6, .str.16@rel32@lo+4
	s_addc_u32 s7, s7, .str.16@rel32@hi+12
	s_getpc_b64 s[8:9]
	s_add_u32 s8, s8, __PRETTY_FUNCTION__._ZN3sop13minatoIsopRecEPKjS1_iPNS_3SopEP7VecsMemIjLi8192EE@rel32@lo+4
	s_addc_u32 s9, s9, __PRETTY_FUNCTION__._ZN3sop13minatoIsopRecEPKjS1_iPNS_3SopEP7VecsMemIjLi8192EE@rel32@hi+12
	v_mov_b32_e32 v0, s4
	v_mov_b32_e32 v1, s5
	;; [unrolled: 1-line block ×7, first 2 shown]
	s_getpc_b64 s[10:11]
	s_add_u32 s10, s10, __assert_fail@rel32@lo+4
	s_addc_u32 s11, s11, __assert_fail@rel32@hi+12
	s_mov_b64 s[8:9], s[34:35]
	s_swappc_b64 s[30:31], s[10:11]
	s_mov_b64 s[8:9], s[34:35]
	s_or_b32 s6, s24, exec_lo
                                        ; implicit-def: $vgpr78
                                        ; implicit-def: $vgpr76_vgpr77
                                        ; implicit-def: $vgpr47
                                        ; implicit-def: $vgpr60
                                        ; implicit-def: $vgpr61
                                        ; implicit-def: $vgpr62
                                        ; implicit-def: $vgpr0
                                        ; implicit-def: $vgpr1
                                        ; implicit-def: $vgpr74_vgpr75
.LBB3_470:
	s_or_saveexec_b32 s7, s23
	s_mov_b32 s4, 0
	s_xor_b32 exec_lo, exec_lo, s7
	s_cbranch_execz .LBB3_483
; %bb.471:
	s_and_saveexec_b32 s5, s36
	s_cbranch_execz .LBB3_476
; %bb.472:
	v_add_nc_u32_e32 v2, -1, v76
	v_mov_b32_e32 v3, 0
	v_add_nc_u32_e32 v10, 1, v76
	s_mov_b32 s10, 0
	v_lshlrev_b64 v[2:3], 2, v[2:3]
	v_mov_b32_e32 v11, v10
	v_add_co_u32 v4, vcc_lo, v41, v2
	v_add_co_ci_u32_e64 v5, null, v42, v3, vcc_lo
	v_add_co_u32 v0, vcc_lo, v0, v2
	v_add_co_ci_u32_e64 v1, null, v1, v3, vcc_lo
	;; [unrolled: 2-line block ×3, first 2 shown]
	v_mov_b32_e32 v9, v1
	v_mov_b32_e32 v8, v0
.LBB3_473:                              ; =>This Inner Loop Header: Depth=1
	flat_load_dword v12, v[6:7]
	flat_load_dword v13, v[8:9]
	v_add_nc_u32_e32 v11, -1, v11
	v_add_co_u32 v8, vcc_lo, v8, -4
	v_add_co_ci_u32_e64 v9, null, -1, v9, vcc_lo
	v_add_co_u32 v6, vcc_lo, v6, -4
	v_add_co_ci_u32_e64 v7, null, -1, v7, vcc_lo
	v_cmp_gt_u32_e32 vcc_lo, 2, v11
	s_or_b32 s10, vcc_lo, s10
	s_waitcnt vmcnt(0) lgkmcnt(0)
	v_or_b32_e32 v12, v13, v12
	flat_store_dword v[4:5], v12
	v_add_co_u32 v4, s4, v4, -4
	v_add_co_ci_u32_e64 v5, null, -1, v5, s4
	s_andn2_b32 exec_lo, exec_lo, s10
	s_cbranch_execnz .LBB3_473
; %bb.474:
	s_or_b32 exec_lo, exec_lo, s10
	v_add_co_u32 v4, vcc_lo, v74, v2
	v_add_co_ci_u32_e64 v5, null, v75, v3, vcc_lo
	s_mov_b32 s10, 0
	v_add_co_u32 v4, vcc_lo, v41, v4
	v_add_co_ci_u32_e64 v5, null, v42, v5, vcc_lo
	v_add_co_u32 v2, vcc_lo, v61, v2
	v_add_co_ci_u32_e64 v3, null, v62, v3, vcc_lo
.LBB3_475:                              ; =>This Inner Loop Header: Depth=1
	flat_load_dword v6, v[2:3]
	flat_load_dword v7, v[0:1]
	v_add_nc_u32_e32 v10, -1, v10
	v_add_co_u32 v0, vcc_lo, v0, -4
	v_add_co_ci_u32_e64 v1, null, -1, v1, vcc_lo
	v_add_co_u32 v2, vcc_lo, v2, -4
	v_add_co_ci_u32_e64 v3, null, -1, v3, vcc_lo
	v_cmp_gt_u32_e32 vcc_lo, 2, v10
	s_or_b32 s10, vcc_lo, s10
	s_waitcnt vmcnt(0) lgkmcnt(0)
	v_or_b32_e32 v6, v7, v6
	flat_store_dword v[4:5], v6
	v_add_co_u32 v4, s4, v4, -4
	v_add_co_ci_u32_e64 v5, null, -1, v5, s4
	s_andn2_b32 exec_lo, exec_lo, s10
	s_cbranch_execnz .LBB3_475
.LBB3_476:
	s_or_b32 exec_lo, exec_lo, s5
	v_lshlrev_b32_e64 v6, v78, 2
	v_ashrrev_i32_e32 v4, 31, v73
	s_mov_b32 s10, 0
	s_mov_b32 s12, 1
	s_mov_b32 s11, exec_lo
	v_ashrrev_i32_e32 v0, 31, v6
	v_add_nc_u32_e32 v5, v73, v4
	v_add_nc_u32_e32 v1, v6, v0
	v_xor_b32_e32 v5, v5, v4
	v_xor_b32_e32 v1, v1, v0
	;; [unrolled: 1-line block ×3, first 2 shown]
	v_cvt_f32_u32_e32 v2, v1
	v_sub_nc_u32_e32 v3, 0, v1
	v_rcp_iflag_f32_e32 v2, v2
	v_mul_f32_e32 v2, 0x4f7ffffe, v2
	v_cvt_u32_f32_e32 v2, v2
	v_mul_lo_u32 v3, v3, v2
	v_mul_hi_u32 v3, v2, v3
	v_add_nc_u32_e32 v2, v2, v3
	v_mul_hi_u32 v2, v5, v2
	v_mul_lo_u32 v3, v2, v1
	v_sub_nc_u32_e32 v3, v5, v3
	v_add_nc_u32_e32 v5, 1, v2
	v_sub_nc_u32_e32 v7, v3, v1
	v_cmp_ge_u32_e32 vcc_lo, v3, v1
	v_cndmask_b32_e32 v3, v3, v7, vcc_lo
	v_cndmask_b32_e32 v2, v2, v5, vcc_lo
	v_cmp_ge_u32_e32 vcc_lo, v3, v1
	v_add_nc_u32_e32 v5, 1, v2
	v_cndmask_b32_e32 v1, v2, v5, vcc_lo
	v_xor_b32_e32 v1, v1, v0
	v_sub_nc_u32_e32 v7, v1, v0
	v_cmpx_lt_i32_e32 1, v7
	s_cbranch_execz .LBB3_482
; %bb.477:
	v_mov_b32_e32 v1, 0
	v_mov_b32_e32 v0, v6
	v_cmp_lt_i32_e32 vcc_lo, 0, v6
	s_inst_prefetch 0x1
	s_branch .LBB3_479
.LBB3_478:                              ;   in Loop: Header=BB3_479 Depth=1
	s_or_b32 exec_lo, exec_lo, s13
	s_add_i32 s12, s12, 1
	v_add_nc_u32_e32 v0, v0, v6
	v_cmp_eq_u32_e64 s4, s12, v7
	s_or_b32 s10, s4, s10
	s_andn2_b32 exec_lo, exec_lo, s10
	s_cbranch_execz .LBB3_482
.LBB3_479:                              ; =>This Loop Header: Depth=1
                                        ;     Child Loop BB3_481 Depth 2
	s_and_saveexec_b32 s13, vcc_lo
	s_cbranch_execz .LBB3_478
; %bb.480:                              ;   in Loop: Header=BB3_479 Depth=1
	v_lshlrev_b64 v[2:3], 2, v[0:1]
	v_mov_b32_e32 v4, v41
	v_mov_b32_e32 v5, v42
	;; [unrolled: 1-line block ×3, first 2 shown]
	s_mov_b32 s14, 0
	.p2align	6
.LBB3_481:                              ;   Parent Loop BB3_479 Depth=1
                                        ; =>  This Inner Loop Header: Depth=2
	flat_load_dword v11, v[4:5]
	v_add_nc_u32_e32 v8, -1, v8
	v_add_co_u32 v9, s4, v4, v2
	v_add_co_ci_u32_e64 v10, null, v5, v3, s4
	v_cmp_eq_u32_e64 s4, 0, v8
	v_add_co_u32 v4, s5, v4, 4
	v_add_co_ci_u32_e64 v5, null, 0, v5, s5
	s_or_b32 s14, s4, s14
	s_waitcnt vmcnt(0) lgkmcnt(0)
	flat_store_dword v[9:10], v11
	s_andn2_b32 exec_lo, exec_lo, s14
	s_cbranch_execnz .LBB3_481
	s_branch .LBB3_478
.LBB3_482:
	s_inst_prefetch 0x2
	s_or_b32 exec_lo, exec_lo, s11
	s_mov_b32 s4, exec_lo
.LBB3_483:
	s_or_b32 exec_lo, exec_lo, s7
	s_andn2_b32 s5, s24, exec_lo
	s_and_b32 s6, s6, exec_lo
	s_and_b32 s23, s4, exec_lo
	s_or_b32 s25, s5, s6
.LBB3_484:
	s_andn2_saveexec_b32 s21, s21
	s_cbranch_execz .LBB3_486
; %bb.485:
	s_getpc_b64 s[4:5]
	s_add_u32 s4, s4, .str.20@rel32@lo+4
	s_addc_u32 s5, s5, .str.20@rel32@hi+12
	s_getpc_b64 s[6:7]
	s_add_u32 s6, s6, .str.16@rel32@lo+4
	s_addc_u32 s7, s7, .str.16@rel32@hi+12
	s_getpc_b64 s[8:9]
	s_add_u32 s8, s8, __PRETTY_FUNCTION__._ZN3sop13minatoIsopRecEPKjS1_iPNS_3SopEP7VecsMemIjLi8192EE@rel32@lo+4
	s_addc_u32 s9, s9, __PRETTY_FUNCTION__._ZN3sop13minatoIsopRecEPKjS1_iPNS_3SopEP7VecsMemIjLi8192EE@rel32@hi+12
	v_mov_b32_e32 v0, s4
	v_mov_b32_e32 v1, s5
	;; [unrolled: 1-line block ×7, first 2 shown]
	s_getpc_b64 s[10:11]
	s_add_u32 s10, s10, __assert_fail@rel32@lo+4
	s_addc_u32 s11, s11, __assert_fail@rel32@hi+12
	s_mov_b64 s[8:9], s[34:35]
	s_swappc_b64 s[30:31], s[10:11]
	s_mov_b64 s[8:9], s[34:35]
	s_or_b32 s25, s25, exec_lo
.LBB3_486:
	s_or_b32 exec_lo, exec_lo, s21
	s_andn2_b32 s4, s24, exec_lo
	s_and_b32 s5, s25, exec_lo
	s_and_b32 s21, s23, exec_lo
	s_or_b32 s24, s4, s5
.LBB3_487:
	s_or_b32 exec_lo, exec_lo, s22
	s_andn2_b32 s4, s70, exec_lo
	s_and_b32 s5, s24, exec_lo
	s_and_b32 s80, s21, exec_lo
	s_or_b32 s81, s4, s5
                                        ; implicit-def: $vgpr58_vgpr59
                                        ; implicit-def: $vgpr56_vgpr57
                                        ; implicit-def: $vgpr45
                                        ; implicit-def: $vgpr52
.LBB3_488:
	s_andn2_saveexec_b32 s82, s37
	s_cbranch_execz .LBB3_493
; %bb.489:
	flat_load_dword v0, v[58:59]
	flat_load_dword v1, v[56:57]
	v_mov_b32_e32 v2, v52
	v_mov_b32_e32 v3, v45
	;; [unrolled: 1-line block ×5, first 2 shown]
	s_getpc_b64 s[4:5]
	s_add_u32 s4, s4, _ZN3sop14minatoIsop5RecEjjiPNS_3SopEP7VecsMemIjLi8192EE@rel32@lo+4
	s_addc_u32 s5, s5, _ZN3sop14minatoIsop5RecEjjiPNS_3SopEP7VecsMemIjLi8192EE@rel32@hi+12
	s_mov_b64 s[54:55], s[8:9]
	s_swappc_b64 s[30:31], s[4:5]
	s_and_saveexec_b32 s5, s69
	s_cbranch_execz .LBB3_492
; %bb.490:
	v_mov_b32_e32 v1, v41
	v_mov_b32_e32 v2, v42
	s_mov_b32 s6, 0
.LBB3_491:                              ; =>This Inner Loop Header: Depth=1
	v_add_nc_u32_e32 v73, -1, v73
	flat_store_dword v[1:2], v0
	v_add_co_u32 v1, s4, v1, 4
	v_add_co_ci_u32_e64 v2, null, 0, v2, s4
	v_cmp_eq_u32_e32 vcc_lo, 0, v73
	s_or_b32 s6, vcc_lo, s6
	s_andn2_b32 exec_lo, exec_lo, s6
	s_cbranch_execnz .LBB3_491
.LBB3_492:
	s_or_b32 exec_lo, exec_lo, s5
	s_or_b32 s80, s80, exec_lo
	s_mov_b64 s[8:9], s[54:55]
.LBB3_493:
	s_or_b32 exec_lo, exec_lo, s82
	s_andn2_b32 s4, s70, exec_lo
	s_and_b32 s5, s81, exec_lo
	s_or_b32 s70, s4, s5
	s_and_b32 s4, s80, exec_lo
.LBB3_494:
	s_or_b32 exec_lo, exec_lo, s71
	s_andn2_b32 s5, s64, exec_lo
	s_and_b32 s6, s70, exec_lo
	s_and_b32 s21, s4, exec_lo
	s_or_b32 s24, s5, s6
                                        ; implicit-def: $vgpr45_vgpr46
                                        ; implicit-def: $vgpr43_vgpr44
                                        ; implicit-def: $vgpr73
.LBB3_495:
	s_andn2_saveexec_b32 s25, s68
	s_cbranch_execz .LBB3_638
; %bb.496:
	v_mov_b32_e32 v0, 0
	v_mov_b32_e32 v1, 1
	s_mov_b32 s26, s21
	s_mov_b32 s4, exec_lo
	flat_store_dwordx2 v[45:46], v[0:1]
	flat_load_dword v1, v[43:44]
	s_waitcnt vmcnt(0) lgkmcnt(0)
	v_cmpx_gt_i32_e32 0x2000, v1
	s_xor_b32 s5, exec_lo, s4
	s_cbranch_execz .LBB3_501
; %bb.497:
	v_ashrrev_i32_e32 v2, 31, v1
	s_mov_b32 s6, exec_lo
	v_lshlrev_b64 v[2:3], 2, v[1:2]
	v_add_nc_u32_e32 v1, 1, v1
	v_add_co_u32 v2, vcc_lo, v43, v2
	v_add_co_ci_u32_e64 v3, null, v44, v3, vcc_lo
	v_add_co_u32 v4, vcc_lo, v2, 4
	v_add_co_ci_u32_e64 v5, null, 0, v3, vcc_lo
	flat_store_dword v[43:44], v1
	flat_store_dwordx2 v[45:46], v[4:5] offset:8
	flat_store_dword v[2:3], v0 offset:4
	v_cmpx_lt_i32_e32 0, v73
	s_cbranch_execz .LBB3_500
; %bb.498:
	v_add_nc_u32_e32 v1, -1, v73
	v_mov_b32_e32 v2, v0
	v_mov_b32_e32 v3, -1
	s_mov_b32 s7, 0
	v_lshlrev_b64 v[0:1], 2, v[1:2]
	v_add_nc_u32_e32 v2, 1, v73
	v_add_co_u32 v0, vcc_lo, v41, v0
	v_add_co_ci_u32_e64 v1, null, v42, v1, vcc_lo
.LBB3_499:                              ; =>This Inner Loop Header: Depth=1
	v_add_nc_u32_e32 v2, -1, v2
	flat_store_dword v[0:1], v3
	v_add_co_u32 v0, s4, v0, -4
	v_add_co_ci_u32_e64 v1, null, -1, v1, s4
	v_cmp_gt_u32_e32 vcc_lo, 2, v2
	s_or_b32 s7, vcc_lo, s7
	s_andn2_b32 exec_lo, exec_lo, s7
	s_cbranch_execnz .LBB3_499
.LBB3_500:
	s_or_b32 exec_lo, exec_lo, s6
	s_or_b32 s26, s21, exec_lo
.LBB3_501:
	s_or_saveexec_b32 s27, s5
	s_mov_b32 s4, s24
	s_xor_b32 exec_lo, exec_lo, s27
	s_cbranch_execz .LBB3_637
; %bb.502:
	s_load_dwordx2 s[6:7], s[8:9], 0x50
	v_mbcnt_lo_u32_b32 v29, -1, 0
	v_mov_b32_e32 v6, 0
	v_mov_b32_e32 v7, 0
	v_readfirstlane_b32 s4, v29
	v_cmp_eq_u32_e64 s4, s4, v29
	s_and_saveexec_b32 s5, s4
	s_cbranch_execz .LBB3_508
; %bb.503:
	v_mov_b32_e32 v0, 0
	s_mov_b32 s10, exec_lo
	s_waitcnt lgkmcnt(0)
	global_load_dwordx2 v[3:4], v0, s[6:7] offset:24 glc dlc
	s_waitcnt vmcnt(0)
	buffer_gl1_inv
	buffer_gl0_inv
	s_clause 0x1
	global_load_dwordx2 v[1:2], v0, s[6:7] offset:40
	global_load_dwordx2 v[5:6], v0, s[6:7]
	s_waitcnt vmcnt(1)
	v_and_b32_e32 v2, v2, v4
	v_and_b32_e32 v1, v1, v3
	v_mul_lo_u32 v2, v2, 24
	v_mul_hi_u32 v7, v1, 24
	v_mul_lo_u32 v1, v1, 24
	v_add_nc_u32_e32 v2, v7, v2
	s_waitcnt vmcnt(0)
	v_add_co_u32 v1, vcc_lo, v5, v1
	v_add_co_ci_u32_e64 v2, null, v6, v2, vcc_lo
	global_load_dwordx2 v[1:2], v[1:2], off glc dlc
	s_waitcnt vmcnt(0)
	global_atomic_cmpswap_x2 v[6:7], v0, v[1:4], s[6:7] offset:24 glc
	s_waitcnt vmcnt(0)
	buffer_gl1_inv
	buffer_gl0_inv
	v_cmpx_ne_u64_e64 v[6:7], v[3:4]
	s_cbranch_execz .LBB3_507
; %bb.504:
	s_mov_b32 s11, 0
	.p2align	6
.LBB3_505:                              ; =>This Inner Loop Header: Depth=1
	s_sleep 1
	s_clause 0x1
	global_load_dwordx2 v[1:2], v0, s[6:7] offset:40
	global_load_dwordx2 v[8:9], v0, s[6:7]
	v_mov_b32_e32 v3, v6
	v_mov_b32_e32 v4, v7
	s_waitcnt vmcnt(1)
	v_and_b32_e32 v1, v1, v3
	v_and_b32_e32 v2, v2, v4
	s_waitcnt vmcnt(0)
	v_mad_u64_u32 v[5:6], null, v1, 24, v[8:9]
	v_mov_b32_e32 v1, v6
	v_mad_u64_u32 v[1:2], null, v2, 24, v[1:2]
	v_mov_b32_e32 v6, v1
	global_load_dwordx2 v[1:2], v[5:6], off glc dlc
	s_waitcnt vmcnt(0)
	global_atomic_cmpswap_x2 v[6:7], v0, v[1:4], s[6:7] offset:24 glc
	s_waitcnt vmcnt(0)
	buffer_gl1_inv
	buffer_gl0_inv
	v_cmp_eq_u64_e32 vcc_lo, v[6:7], v[3:4]
	s_or_b32 s11, vcc_lo, s11
	s_andn2_b32 exec_lo, exec_lo, s11
	s_cbranch_execnz .LBB3_505
; %bb.506:
	s_or_b32 exec_lo, exec_lo, s11
.LBB3_507:
	s_or_b32 exec_lo, exec_lo, s10
.LBB3_508:
	s_or_b32 exec_lo, exec_lo, s5
	v_mov_b32_e32 v5, 0
	v_readfirstlane_b32 s11, v7
	v_readfirstlane_b32 s10, v6
	s_mov_b32 s5, exec_lo
	s_waitcnt lgkmcnt(0)
	s_clause 0x1
	global_load_dwordx2 v[8:9], v5, s[6:7] offset:40
	global_load_dwordx4 v[0:3], v5, s[6:7]
	s_waitcnt vmcnt(1)
	v_readfirstlane_b32 s12, v8
	v_readfirstlane_b32 s13, v9
	s_and_b64 s[12:13], s[12:13], s[10:11]
	s_mul_i32 s14, s13, 24
	s_mul_hi_u32 s15, s12, 24
	s_mul_i32 s16, s12, 24
	s_add_i32 s15, s15, s14
	s_waitcnt vmcnt(0)
	v_add_co_u32 v8, vcc_lo, v0, s16
	v_add_co_ci_u32_e64 v9, null, s15, v1, vcc_lo
	s_and_saveexec_b32 s14, s4
	s_cbranch_execz .LBB3_510
; %bb.509:
	v_mov_b32_e32 v4, s5
	v_mov_b32_e32 v6, 2
	;; [unrolled: 1-line block ×3, first 2 shown]
	global_store_dwordx4 v[8:9], v[4:7], off offset:8
.LBB3_510:
	s_or_b32 exec_lo, exec_lo, s14
	s_lshl_b64 s[12:13], s[12:13], 12
	v_lshlrev_b32_e32 v28, 6, v29
	v_add_co_u32 v2, vcc_lo, v2, s12
	v_add_co_ci_u32_e64 v3, null, s13, v3, vcc_lo
	s_mov_b32 s12, 0
	v_add_co_u32 v10, vcc_lo, v2, v28
	s_mov_b32 s13, s12
	s_mov_b32 s14, s12
	;; [unrolled: 1-line block ×3, first 2 shown]
	v_mov_b32_e32 v4, 33
	v_mov_b32_e32 v6, v5
	;; [unrolled: 1-line block ×3, first 2 shown]
	v_readfirstlane_b32 s16, v2
	v_readfirstlane_b32 s17, v3
	v_mov_b32_e32 v12, s12
	v_add_co_ci_u32_e64 v11, null, 0, v3, vcc_lo
	v_mov_b32_e32 v13, s13
	v_mov_b32_e32 v14, s14
	v_mov_b32_e32 v15, s15
	global_store_dwordx4 v28, v[4:7], s[16:17]
	global_store_dwordx4 v28, v[12:15], s[16:17] offset:16
	global_store_dwordx4 v28, v[12:15], s[16:17] offset:32
	;; [unrolled: 1-line block ×3, first 2 shown]
	s_and_saveexec_b32 s5, s4
	s_cbranch_execz .LBB3_518
; %bb.511:
	v_mov_b32_e32 v6, 0
	v_mov_b32_e32 v12, s10
	;; [unrolled: 1-line block ×3, first 2 shown]
	s_mov_b32 s12, exec_lo
	s_clause 0x1
	global_load_dwordx2 v[14:15], v6, s[6:7] offset:32 glc dlc
	global_load_dwordx2 v[2:3], v6, s[6:7] offset:40
	s_waitcnt vmcnt(0)
	v_and_b32_e32 v3, s11, v3
	v_and_b32_e32 v2, s10, v2
	v_mul_lo_u32 v3, v3, 24
	v_mul_hi_u32 v4, v2, 24
	v_mul_lo_u32 v2, v2, 24
	v_add_nc_u32_e32 v3, v4, v3
	v_add_co_u32 v4, vcc_lo, v0, v2
	v_add_co_ci_u32_e64 v5, null, v1, v3, vcc_lo
	global_store_dwordx2 v[4:5], v[14:15], off
	s_waitcnt_vscnt null, 0x0
	global_atomic_cmpswap_x2 v[2:3], v6, v[12:15], s[6:7] offset:32 glc
	s_waitcnt vmcnt(0)
	v_cmpx_ne_u64_e64 v[2:3], v[14:15]
	s_cbranch_execz .LBB3_514
; %bb.512:
	s_mov_b32 s13, 0
.LBB3_513:                              ; =>This Inner Loop Header: Depth=1
	v_mov_b32_e32 v0, s10
	v_mov_b32_e32 v1, s11
	s_sleep 1
	global_store_dwordx2 v[4:5], v[2:3], off
	s_waitcnt_vscnt null, 0x0
	global_atomic_cmpswap_x2 v[0:1], v6, v[0:3], s[6:7] offset:32 glc
	s_waitcnt vmcnt(0)
	v_cmp_eq_u64_e32 vcc_lo, v[0:1], v[2:3]
	v_mov_b32_e32 v3, v1
	v_mov_b32_e32 v2, v0
	s_or_b32 s13, vcc_lo, s13
	s_andn2_b32 exec_lo, exec_lo, s13
	s_cbranch_execnz .LBB3_513
.LBB3_514:
	s_or_b32 exec_lo, exec_lo, s12
	v_mov_b32_e32 v3, 0
	s_mov_b32 s13, exec_lo
	s_mov_b32 s12, exec_lo
	v_mbcnt_lo_u32_b32 v2, s13, 0
	global_load_dwordx2 v[0:1], v3, s[6:7] offset:16
	v_cmpx_eq_u32_e32 0, v2
	s_cbranch_execz .LBB3_516
; %bb.515:
	s_bcnt1_i32_b32 s13, s13
	v_mov_b32_e32 v2, s13
	s_waitcnt vmcnt(0)
	global_atomic_add_x2 v[0:1], v[2:3], off offset:8
.LBB3_516:
	s_or_b32 exec_lo, exec_lo, s12
	s_waitcnt vmcnt(0)
	global_load_dwordx2 v[2:3], v[0:1], off offset:16
	s_waitcnt vmcnt(0)
	v_cmp_eq_u64_e32 vcc_lo, 0, v[2:3]
	s_cbranch_vccnz .LBB3_518
; %bb.517:
	global_load_dword v0, v[0:1], off offset:24
	v_mov_b32_e32 v1, 0
	s_waitcnt vmcnt(0)
	v_readfirstlane_b32 s12, v0
	s_waitcnt_vscnt null, 0x0
	global_store_dwordx2 v[2:3], v[0:1], off
	s_and_b32 m0, s12, 0x7fffff
	s_sendmsg sendmsg(MSG_INTERRUPT)
.LBB3_518:
	s_or_b32 exec_lo, exec_lo, s5
	s_branch .LBB3_522
	.p2align	6
.LBB3_519:                              ;   in Loop: Header=BB3_522 Depth=1
	s_or_b32 exec_lo, exec_lo, s5
	v_readfirstlane_b32 s5, v0
	s_cmp_eq_u32 s5, 0
	s_cbranch_scc1 .LBB3_521
; %bb.520:                              ;   in Loop: Header=BB3_522 Depth=1
	s_sleep 1
	s_cbranch_execnz .LBB3_522
	s_branch .LBB3_524
	.p2align	6
.LBB3_521:
	s_branch .LBB3_524
.LBB3_522:                              ; =>This Inner Loop Header: Depth=1
	v_mov_b32_e32 v0, 1
	s_and_saveexec_b32 s5, s4
	s_cbranch_execz .LBB3_519
; %bb.523:                              ;   in Loop: Header=BB3_522 Depth=1
	global_load_dword v0, v[8:9], off offset:20 glc dlc
	s_waitcnt vmcnt(0)
	buffer_gl1_inv
	buffer_gl0_inv
	v_and_b32_e32 v0, 1, v0
	s_branch .LBB3_519
.LBB3_524:
	global_load_dwordx2 v[0:1], v[10:11], off
	s_and_saveexec_b32 s12, s4
	s_cbranch_execz .LBB3_528
; %bb.525:
	v_mov_b32_e32 v8, 0
	s_clause 0x2
	global_load_dwordx2 v[2:3], v8, s[6:7] offset:40
	global_load_dwordx2 v[11:12], v8, s[6:7] offset:24 glc dlc
	global_load_dwordx2 v[4:5], v8, s[6:7]
	s_waitcnt vmcnt(2)
	v_readfirstlane_b32 s14, v2
	v_readfirstlane_b32 s15, v3
	s_add_u32 s13, s14, 1
	s_addc_u32 s16, s15, 0
	s_add_u32 s4, s13, s10
	s_addc_u32 s5, s16, s11
	s_cmp_eq_u64 s[4:5], 0
	s_cselect_b32 s5, s16, s5
	s_cselect_b32 s4, s13, s4
	v_mov_b32_e32 v10, s5
	s_and_b64 s[10:11], s[4:5], s[14:15]
	v_mov_b32_e32 v9, s4
	s_mul_i32 s11, s11, 24
	s_mul_hi_u32 s13, s10, 24
	s_mul_i32 s10, s10, 24
	s_add_i32 s13, s13, s11
	s_waitcnt vmcnt(0)
	v_add_co_u32 v6, vcc_lo, v4, s10
	v_add_co_ci_u32_e64 v7, null, s13, v5, vcc_lo
	global_store_dwordx2 v[6:7], v[11:12], off
	s_waitcnt_vscnt null, 0x0
	global_atomic_cmpswap_x2 v[4:5], v8, v[9:12], s[6:7] offset:24 glc
	s_waitcnt vmcnt(0)
	v_cmp_ne_u64_e32 vcc_lo, v[4:5], v[11:12]
	s_and_b32 exec_lo, exec_lo, vcc_lo
	s_cbranch_execz .LBB3_528
; %bb.526:
	s_mov_b32 s10, 0
.LBB3_527:                              ; =>This Inner Loop Header: Depth=1
	v_mov_b32_e32 v2, s4
	v_mov_b32_e32 v3, s5
	s_sleep 1
	global_store_dwordx2 v[6:7], v[4:5], off
	s_waitcnt_vscnt null, 0x0
	global_atomic_cmpswap_x2 v[2:3], v8, v[2:5], s[6:7] offset:24 glc
	s_waitcnt vmcnt(0)
	v_cmp_eq_u64_e32 vcc_lo, v[2:3], v[4:5]
	v_mov_b32_e32 v5, v3
	v_mov_b32_e32 v4, v2
	s_or_b32 s10, vcc_lo, s10
	s_andn2_b32 exec_lo, exec_lo, s10
	s_cbranch_execnz .LBB3_527
.LBB3_528:
	s_or_b32 exec_lo, exec_lo, s12
	s_getpc_b64 s[10:11]
	s_add_u32 s10, s10, .str.28@rel32@lo+4
	s_addc_u32 s11, s11, .str.28@rel32@hi+12
	s_cmp_lg_u64 s[10:11], 0
	s_cbranch_scc0 .LBB3_607
; %bb.529:
	s_waitcnt vmcnt(0)
	v_and_b32_e32 v6, -3, v0
	v_mov_b32_e32 v7, v1
	v_mov_b32_e32 v3, 0
	;; [unrolled: 1-line block ×4, first 2 shown]
	s_mov_b64 s[12:13], 35
	s_branch .LBB3_531
.LBB3_530:                              ;   in Loop: Header=BB3_531 Depth=1
	s_or_b32 exec_lo, exec_lo, s18
	s_sub_u32 s12, s12, s14
	s_subb_u32 s13, s13, s15
	s_add_u32 s10, s10, s14
	s_addc_u32 s11, s11, s15
	s_cmp_lg_u64 s[12:13], 0
	s_cbranch_scc0 .LBB3_606
.LBB3_531:                              ; =>This Loop Header: Depth=1
                                        ;     Child Loop BB3_534 Depth 2
                                        ;     Child Loop BB3_541 Depth 2
	;; [unrolled: 1-line block ×11, first 2 shown]
	v_cmp_lt_u64_e64 s4, s[12:13], 56
	v_cmp_gt_u64_e64 s16, s[12:13], 7
	s_and_b32 s4, s4, exec_lo
	s_cselect_b32 s15, s13, 0
	s_cselect_b32 s14, s12, 56
	s_add_u32 s4, s10, 8
	s_addc_u32 s5, s11, 0
	s_and_b32 vcc_lo, exec_lo, s16
	s_cbranch_vccnz .LBB3_536
; %bb.532:                              ;   in Loop: Header=BB3_531 Depth=1
	s_waitcnt vmcnt(0)
	v_mov_b32_e32 v8, 0
	v_mov_b32_e32 v9, 0
	s_cmp_eq_u64 s[12:13], 0
	s_cbranch_scc1 .LBB3_535
; %bb.533:                              ;   in Loop: Header=BB3_531 Depth=1
	s_lshl_b64 s[4:5], s[14:15], 3
	s_mov_b64 s[16:17], 0
	s_mov_b64 s[18:19], s[10:11]
.LBB3_534:                              ;   Parent Loop BB3_531 Depth=1
                                        ; =>  This Inner Loop Header: Depth=2
	global_load_ubyte v2, v3, s[18:19]
	s_waitcnt vmcnt(0)
	v_and_b32_e32 v2, 0xffff, v2
	v_lshlrev_b64 v[10:11], s16, v[2:3]
	s_add_u32 s16, s16, 8
	s_addc_u32 s17, s17, 0
	s_add_u32 s18, s18, 1
	s_addc_u32 s19, s19, 0
	s_cmp_lg_u32 s4, s16
	v_or_b32_e32 v8, v10, v8
	v_or_b32_e32 v9, v11, v9
	s_cbranch_scc1 .LBB3_534
.LBB3_535:                              ;   in Loop: Header=BB3_531 Depth=1
	s_mov_b64 s[4:5], s[10:11]
	s_mov_b32 s20, 0
	s_cbranch_execz .LBB3_537
	s_branch .LBB3_538
.LBB3_536:                              ;   in Loop: Header=BB3_531 Depth=1
	s_mov_b32 s20, 0
.LBB3_537:                              ;   in Loop: Header=BB3_531 Depth=1
	global_load_dwordx2 v[8:9], v3, s[10:11]
	s_add_i32 s20, s14, -8
.LBB3_538:                              ;   in Loop: Header=BB3_531 Depth=1
	s_add_u32 s16, s4, 8
	s_addc_u32 s17, s5, 0
	s_cmp_gt_u32 s20, 7
	s_cbranch_scc1 .LBB3_543
; %bb.539:                              ;   in Loop: Header=BB3_531 Depth=1
	v_mov_b32_e32 v10, 0
	v_mov_b32_e32 v11, 0
	s_cmp_eq_u32 s20, 0
	s_cbranch_scc1 .LBB3_542
; %bb.540:                              ;   in Loop: Header=BB3_531 Depth=1
	s_mov_b64 s[16:17], 0
	s_mov_b64 s[18:19], 0
.LBB3_541:                              ;   Parent Loop BB3_531 Depth=1
                                        ; =>  This Inner Loop Header: Depth=2
	s_add_u32 s22, s4, s18
	s_addc_u32 s23, s5, s19
	s_add_u32 s18, s18, 1
	global_load_ubyte v2, v3, s[22:23]
	s_addc_u32 s19, s19, 0
	s_waitcnt vmcnt(0)
	v_and_b32_e32 v2, 0xffff, v2
	v_lshlrev_b64 v[12:13], s16, v[2:3]
	s_add_u32 s16, s16, 8
	s_addc_u32 s17, s17, 0
	s_cmp_lg_u32 s20, s18
	v_or_b32_e32 v10, v12, v10
	v_or_b32_e32 v11, v13, v11
	s_cbranch_scc1 .LBB3_541
.LBB3_542:                              ;   in Loop: Header=BB3_531 Depth=1
	s_mov_b64 s[16:17], s[4:5]
	s_mov_b32 s22, 0
	s_cbranch_execz .LBB3_544
	s_branch .LBB3_545
.LBB3_543:                              ;   in Loop: Header=BB3_531 Depth=1
                                        ; implicit-def: $vgpr10_vgpr11
	s_mov_b32 s22, 0
.LBB3_544:                              ;   in Loop: Header=BB3_531 Depth=1
	global_load_dwordx2 v[10:11], v3, s[4:5]
	s_add_i32 s22, s20, -8
.LBB3_545:                              ;   in Loop: Header=BB3_531 Depth=1
	s_add_u32 s4, s16, 8
	s_addc_u32 s5, s17, 0
	s_cmp_gt_u32 s22, 7
	s_cbranch_scc1 .LBB3_550
; %bb.546:                              ;   in Loop: Header=BB3_531 Depth=1
	v_mov_b32_e32 v12, 0
	v_mov_b32_e32 v13, 0
	s_cmp_eq_u32 s22, 0
	s_cbranch_scc1 .LBB3_549
; %bb.547:                              ;   in Loop: Header=BB3_531 Depth=1
	s_mov_b64 s[4:5], 0
	s_mov_b64 s[18:19], 0
.LBB3_548:                              ;   Parent Loop BB3_531 Depth=1
                                        ; =>  This Inner Loop Header: Depth=2
	s_add_u32 s28, s16, s18
	s_addc_u32 s29, s17, s19
	s_add_u32 s18, s18, 1
	global_load_ubyte v2, v3, s[28:29]
	s_addc_u32 s19, s19, 0
	s_waitcnt vmcnt(0)
	v_and_b32_e32 v2, 0xffff, v2
	v_lshlrev_b64 v[14:15], s4, v[2:3]
	s_add_u32 s4, s4, 8
	s_addc_u32 s5, s5, 0
	s_cmp_lg_u32 s22, s18
	v_or_b32_e32 v12, v14, v12
	v_or_b32_e32 v13, v15, v13
	s_cbranch_scc1 .LBB3_548
.LBB3_549:                              ;   in Loop: Header=BB3_531 Depth=1
	s_mov_b64 s[4:5], s[16:17]
	s_mov_b32 s20, 0
	s_cbranch_execz .LBB3_551
	s_branch .LBB3_552
.LBB3_550:                              ;   in Loop: Header=BB3_531 Depth=1
	s_mov_b32 s20, 0
.LBB3_551:                              ;   in Loop: Header=BB3_531 Depth=1
	global_load_dwordx2 v[12:13], v3, s[16:17]
	s_add_i32 s20, s22, -8
.LBB3_552:                              ;   in Loop: Header=BB3_531 Depth=1
	s_add_u32 s16, s4, 8
	s_addc_u32 s17, s5, 0
	s_cmp_gt_u32 s20, 7
	s_cbranch_scc1 .LBB3_557
; %bb.553:                              ;   in Loop: Header=BB3_531 Depth=1
	v_mov_b32_e32 v14, 0
	v_mov_b32_e32 v15, 0
	s_cmp_eq_u32 s20, 0
	s_cbranch_scc1 .LBB3_556
; %bb.554:                              ;   in Loop: Header=BB3_531 Depth=1
	s_mov_b64 s[16:17], 0
	s_mov_b64 s[18:19], 0
.LBB3_555:                              ;   Parent Loop BB3_531 Depth=1
                                        ; =>  This Inner Loop Header: Depth=2
	s_add_u32 s22, s4, s18
	s_addc_u32 s23, s5, s19
	s_add_u32 s18, s18, 1
	global_load_ubyte v2, v3, s[22:23]
	s_addc_u32 s19, s19, 0
	s_waitcnt vmcnt(0)
	v_and_b32_e32 v2, 0xffff, v2
	v_lshlrev_b64 v[16:17], s16, v[2:3]
	s_add_u32 s16, s16, 8
	s_addc_u32 s17, s17, 0
	s_cmp_lg_u32 s20, s18
	v_or_b32_e32 v14, v16, v14
	v_or_b32_e32 v15, v17, v15
	s_cbranch_scc1 .LBB3_555
.LBB3_556:                              ;   in Loop: Header=BB3_531 Depth=1
	s_mov_b64 s[16:17], s[4:5]
	s_mov_b32 s22, 0
	s_cbranch_execz .LBB3_558
	s_branch .LBB3_559
.LBB3_557:                              ;   in Loop: Header=BB3_531 Depth=1
                                        ; implicit-def: $vgpr14_vgpr15
	s_mov_b32 s22, 0
.LBB3_558:                              ;   in Loop: Header=BB3_531 Depth=1
	global_load_dwordx2 v[14:15], v3, s[4:5]
	s_add_i32 s22, s20, -8
.LBB3_559:                              ;   in Loop: Header=BB3_531 Depth=1
	s_add_u32 s4, s16, 8
	s_addc_u32 s5, s17, 0
	s_cmp_gt_u32 s22, 7
	s_cbranch_scc1 .LBB3_564
; %bb.560:                              ;   in Loop: Header=BB3_531 Depth=1
	v_mov_b32_e32 v16, 0
	v_mov_b32_e32 v17, 0
	s_cmp_eq_u32 s22, 0
	s_cbranch_scc1 .LBB3_563
; %bb.561:                              ;   in Loop: Header=BB3_531 Depth=1
	s_mov_b64 s[4:5], 0
	s_mov_b64 s[18:19], 0
.LBB3_562:                              ;   Parent Loop BB3_531 Depth=1
                                        ; =>  This Inner Loop Header: Depth=2
	s_add_u32 s28, s16, s18
	s_addc_u32 s29, s17, s19
	s_add_u32 s18, s18, 1
	global_load_ubyte v2, v3, s[28:29]
	s_addc_u32 s19, s19, 0
	s_waitcnt vmcnt(0)
	v_and_b32_e32 v2, 0xffff, v2
	v_lshlrev_b64 v[18:19], s4, v[2:3]
	s_add_u32 s4, s4, 8
	s_addc_u32 s5, s5, 0
	s_cmp_lg_u32 s22, s18
	v_or_b32_e32 v16, v18, v16
	v_or_b32_e32 v17, v19, v17
	s_cbranch_scc1 .LBB3_562
.LBB3_563:                              ;   in Loop: Header=BB3_531 Depth=1
	s_mov_b64 s[4:5], s[16:17]
	s_mov_b32 s20, 0
	s_cbranch_execz .LBB3_565
	s_branch .LBB3_566
.LBB3_564:                              ;   in Loop: Header=BB3_531 Depth=1
	s_mov_b32 s20, 0
.LBB3_565:                              ;   in Loop: Header=BB3_531 Depth=1
	global_load_dwordx2 v[16:17], v3, s[16:17]
	s_add_i32 s20, s22, -8
.LBB3_566:                              ;   in Loop: Header=BB3_531 Depth=1
	s_add_u32 s16, s4, 8
	s_addc_u32 s17, s5, 0
	s_cmp_gt_u32 s20, 7
	s_cbranch_scc1 .LBB3_571
; %bb.567:                              ;   in Loop: Header=BB3_531 Depth=1
	v_mov_b32_e32 v18, 0
	v_mov_b32_e32 v19, 0
	s_cmp_eq_u32 s20, 0
	s_cbranch_scc1 .LBB3_570
; %bb.568:                              ;   in Loop: Header=BB3_531 Depth=1
	s_mov_b64 s[16:17], 0
	s_mov_b64 s[18:19], 0
.LBB3_569:                              ;   Parent Loop BB3_531 Depth=1
                                        ; =>  This Inner Loop Header: Depth=2
	s_add_u32 s22, s4, s18
	s_addc_u32 s23, s5, s19
	s_add_u32 s18, s18, 1
	global_load_ubyte v2, v3, s[22:23]
	s_addc_u32 s19, s19, 0
	s_waitcnt vmcnt(0)
	v_and_b32_e32 v2, 0xffff, v2
	v_lshlrev_b64 v[20:21], s16, v[2:3]
	s_add_u32 s16, s16, 8
	s_addc_u32 s17, s17, 0
	s_cmp_lg_u32 s20, s18
	v_or_b32_e32 v18, v20, v18
	v_or_b32_e32 v19, v21, v19
	s_cbranch_scc1 .LBB3_569
.LBB3_570:                              ;   in Loop: Header=BB3_531 Depth=1
	s_mov_b64 s[16:17], s[4:5]
	s_mov_b32 s22, 0
	s_cbranch_execz .LBB3_572
	s_branch .LBB3_573
.LBB3_571:                              ;   in Loop: Header=BB3_531 Depth=1
                                        ; implicit-def: $vgpr18_vgpr19
	s_mov_b32 s22, 0
.LBB3_572:                              ;   in Loop: Header=BB3_531 Depth=1
	global_load_dwordx2 v[18:19], v3, s[4:5]
	s_add_i32 s22, s20, -8
.LBB3_573:                              ;   in Loop: Header=BB3_531 Depth=1
	s_cmp_gt_u32 s22, 7
	s_cbranch_scc1 .LBB3_578
; %bb.574:                              ;   in Loop: Header=BB3_531 Depth=1
	v_mov_b32_e32 v20, 0
	v_mov_b32_e32 v21, 0
	s_cmp_eq_u32 s22, 0
	s_cbranch_scc1 .LBB3_577
; %bb.575:                              ;   in Loop: Header=BB3_531 Depth=1
	s_mov_b64 s[4:5], 0
	s_mov_b64 s[18:19], s[16:17]
.LBB3_576:                              ;   Parent Loop BB3_531 Depth=1
                                        ; =>  This Inner Loop Header: Depth=2
	global_load_ubyte v2, v3, s[18:19]
	s_add_i32 s22, s22, -1
	s_waitcnt vmcnt(0)
	v_and_b32_e32 v2, 0xffff, v2
	v_lshlrev_b64 v[22:23], s4, v[2:3]
	s_add_u32 s4, s4, 8
	s_addc_u32 s5, s5, 0
	s_add_u32 s18, s18, 1
	s_addc_u32 s19, s19, 0
	s_cmp_lg_u32 s22, 0
	v_or_b32_e32 v20, v22, v20
	v_or_b32_e32 v21, v23, v21
	s_cbranch_scc1 .LBB3_576
.LBB3_577:                              ;   in Loop: Header=BB3_531 Depth=1
	s_cbranch_execz .LBB3_579
	s_branch .LBB3_580
.LBB3_578:                              ;   in Loop: Header=BB3_531 Depth=1
.LBB3_579:                              ;   in Loop: Header=BB3_531 Depth=1
	global_load_dwordx2 v[20:21], v3, s[16:17]
.LBB3_580:                              ;   in Loop: Header=BB3_531 Depth=1
	v_readfirstlane_b32 s4, v29
	v_mov_b32_e32 v26, 0
	v_mov_b32_e32 v27, 0
	v_cmp_eq_u32_e64 s4, s4, v29
	s_and_saveexec_b32 s5, s4
	s_cbranch_execz .LBB3_586
; %bb.581:                              ;   in Loop: Header=BB3_531 Depth=1
	global_load_dwordx2 v[24:25], v3, s[6:7] offset:24 glc dlc
	s_waitcnt vmcnt(0)
	buffer_gl1_inv
	buffer_gl0_inv
	s_clause 0x1
	global_load_dwordx2 v[22:23], v3, s[6:7] offset:40
	global_load_dwordx2 v[26:27], v3, s[6:7]
	s_mov_b32 s16, exec_lo
	s_waitcnt vmcnt(1)
	v_and_b32_e32 v2, v23, v25
	v_and_b32_e32 v22, v22, v24
	v_mul_lo_u32 v2, v2, 24
	v_mul_hi_u32 v23, v22, 24
	v_mul_lo_u32 v22, v22, 24
	v_add_nc_u32_e32 v2, v23, v2
	s_waitcnt vmcnt(0)
	v_add_co_u32 v22, vcc_lo, v26, v22
	v_add_co_ci_u32_e64 v23, null, v27, v2, vcc_lo
	global_load_dwordx2 v[22:23], v[22:23], off glc dlc
	s_waitcnt vmcnt(0)
	global_atomic_cmpswap_x2 v[26:27], v3, v[22:25], s[6:7] offset:24 glc
	s_waitcnt vmcnt(0)
	buffer_gl1_inv
	buffer_gl0_inv
	v_cmpx_ne_u64_e64 v[26:27], v[24:25]
	s_cbranch_execz .LBB3_585
; %bb.582:                              ;   in Loop: Header=BB3_531 Depth=1
	s_mov_b32 s17, 0
	.p2align	6
.LBB3_583:                              ;   Parent Loop BB3_531 Depth=1
                                        ; =>  This Inner Loop Header: Depth=2
	s_sleep 1
	s_clause 0x1
	global_load_dwordx2 v[22:23], v3, s[6:7] offset:40
	global_load_dwordx2 v[30:31], v3, s[6:7]
	v_mov_b32_e32 v24, v26
	v_mov_b32_e32 v25, v27
	s_waitcnt vmcnt(1)
	v_and_b32_e32 v2, v22, v24
	v_and_b32_e32 v22, v23, v25
	s_waitcnt vmcnt(0)
	v_mad_u64_u32 v[26:27], null, v2, 24, v[30:31]
	v_mov_b32_e32 v2, v27
	v_mad_u64_u32 v[22:23], null, v22, 24, v[2:3]
	v_mov_b32_e32 v27, v22
	global_load_dwordx2 v[22:23], v[26:27], off glc dlc
	s_waitcnt vmcnt(0)
	global_atomic_cmpswap_x2 v[26:27], v3, v[22:25], s[6:7] offset:24 glc
	s_waitcnt vmcnt(0)
	buffer_gl1_inv
	buffer_gl0_inv
	v_cmp_eq_u64_e32 vcc_lo, v[26:27], v[24:25]
	s_or_b32 s17, vcc_lo, s17
	s_andn2_b32 exec_lo, exec_lo, s17
	s_cbranch_execnz .LBB3_583
; %bb.584:                              ;   in Loop: Header=BB3_531 Depth=1
	s_or_b32 exec_lo, exec_lo, s17
.LBB3_585:                              ;   in Loop: Header=BB3_531 Depth=1
	s_or_b32 exec_lo, exec_lo, s16
.LBB3_586:                              ;   in Loop: Header=BB3_531 Depth=1
	s_or_b32 exec_lo, exec_lo, s5
	s_clause 0x1
	global_load_dwordx2 v[30:31], v3, s[6:7] offset:40
	global_load_dwordx4 v[22:25], v3, s[6:7]
	v_readfirstlane_b32 s17, v27
	v_readfirstlane_b32 s16, v26
	s_mov_b32 s5, exec_lo
	s_waitcnt vmcnt(1)
	v_readfirstlane_b32 s18, v30
	v_readfirstlane_b32 s19, v31
	s_and_b64 s[18:19], s[18:19], s[16:17]
	s_mul_i32 s20, s19, 24
	s_mul_hi_u32 s22, s18, 24
	s_mul_i32 s23, s18, 24
	s_add_i32 s22, s22, s20
	s_waitcnt vmcnt(0)
	v_add_co_u32 v26, vcc_lo, v22, s23
	v_add_co_ci_u32_e64 v27, null, s22, v23, vcc_lo
	s_and_saveexec_b32 s20, s4
	s_cbranch_execz .LBB3_588
; %bb.587:                              ;   in Loop: Header=BB3_531 Depth=1
	v_mov_b32_e32 v2, s5
	global_store_dwordx4 v[26:27], v[2:5], off offset:8
.LBB3_588:                              ;   in Loop: Header=BB3_531 Depth=1
	s_or_b32 exec_lo, exec_lo, s20
	v_cmp_gt_u64_e64 s5, s[12:13], 56
	s_lshl_b64 s[18:19], s[18:19], 12
	v_and_b32_e32 v2, 0xffffff1f, v6
	v_add_co_u32 v24, vcc_lo, v24, s18
	v_add_co_ci_u32_e64 v25, null, s19, v25, vcc_lo
	s_and_b32 s5, s5, exec_lo
	s_cselect_b32 s5, 0, 2
	s_lshl_b32 s20, s14, 2
	v_or_b32_e32 v2, s5, v2
	v_readfirstlane_b32 s18, v24
	v_readfirstlane_b32 s19, v25
	s_add_i32 s20, s20, 28
	v_and_or_b32 v6, 0x1e0, s20, v2
	global_store_dwordx4 v28, v[10:13], s[18:19] offset:16
	global_store_dwordx4 v28, v[14:17], s[18:19] offset:32
	global_store_dwordx4 v28, v[6:9], s[18:19]
	global_store_dwordx4 v28, v[18:21], s[18:19] offset:48
	s_and_saveexec_b32 s5, s4
	s_cbranch_execz .LBB3_596
; %bb.589:                              ;   in Loop: Header=BB3_531 Depth=1
	s_clause 0x1
	global_load_dwordx2 v[14:15], v3, s[6:7] offset:32 glc dlc
	global_load_dwordx2 v[6:7], v3, s[6:7] offset:40
	v_mov_b32_e32 v12, s16
	v_mov_b32_e32 v13, s17
	s_waitcnt vmcnt(0)
	v_readfirstlane_b32 s18, v6
	v_readfirstlane_b32 s19, v7
	s_and_b64 s[18:19], s[18:19], s[16:17]
	s_mul_i32 s19, s19, 24
	s_mul_hi_u32 s20, s18, 24
	s_mul_i32 s18, s18, 24
	s_add_i32 s20, s20, s19
	v_add_co_u32 v10, vcc_lo, v22, s18
	v_add_co_ci_u32_e64 v11, null, s20, v23, vcc_lo
	s_mov_b32 s18, exec_lo
	global_store_dwordx2 v[10:11], v[14:15], off
	s_waitcnt_vscnt null, 0x0
	global_atomic_cmpswap_x2 v[8:9], v3, v[12:15], s[6:7] offset:32 glc
	s_waitcnt vmcnt(0)
	v_cmpx_ne_u64_e64 v[8:9], v[14:15]
	s_cbranch_execz .LBB3_592
; %bb.590:                              ;   in Loop: Header=BB3_531 Depth=1
	s_mov_b32 s19, 0
.LBB3_591:                              ;   Parent Loop BB3_531 Depth=1
                                        ; =>  This Inner Loop Header: Depth=2
	v_mov_b32_e32 v6, s16
	v_mov_b32_e32 v7, s17
	s_sleep 1
	global_store_dwordx2 v[10:11], v[8:9], off
	s_waitcnt_vscnt null, 0x0
	global_atomic_cmpswap_x2 v[6:7], v3, v[6:9], s[6:7] offset:32 glc
	s_waitcnt vmcnt(0)
	v_cmp_eq_u64_e32 vcc_lo, v[6:7], v[8:9]
	v_mov_b32_e32 v9, v7
	v_mov_b32_e32 v8, v6
	s_or_b32 s19, vcc_lo, s19
	s_andn2_b32 exec_lo, exec_lo, s19
	s_cbranch_execnz .LBB3_591
.LBB3_592:                              ;   in Loop: Header=BB3_531 Depth=1
	s_or_b32 exec_lo, exec_lo, s18
	global_load_dwordx2 v[6:7], v3, s[6:7] offset:16
	s_mov_b32 s19, exec_lo
	s_mov_b32 s18, exec_lo
	v_mbcnt_lo_u32_b32 v2, s19, 0
	v_cmpx_eq_u32_e32 0, v2
	s_cbranch_execz .LBB3_594
; %bb.593:                              ;   in Loop: Header=BB3_531 Depth=1
	s_bcnt1_i32_b32 s19, s19
	v_mov_b32_e32 v2, s19
	s_waitcnt vmcnt(0)
	global_atomic_add_x2 v[6:7], v[2:3], off offset:8
.LBB3_594:                              ;   in Loop: Header=BB3_531 Depth=1
	s_or_b32 exec_lo, exec_lo, s18
	s_waitcnt vmcnt(0)
	global_load_dwordx2 v[8:9], v[6:7], off offset:16
	s_waitcnt vmcnt(0)
	v_cmp_eq_u64_e32 vcc_lo, 0, v[8:9]
	s_cbranch_vccnz .LBB3_596
; %bb.595:                              ;   in Loop: Header=BB3_531 Depth=1
	global_load_dword v2, v[6:7], off offset:24
	s_waitcnt vmcnt(0)
	v_readfirstlane_b32 s18, v2
	s_waitcnt_vscnt null, 0x0
	global_store_dwordx2 v[8:9], v[2:3], off
	s_and_b32 m0, s18, 0x7fffff
	s_sendmsg sendmsg(MSG_INTERRUPT)
.LBB3_596:                              ;   in Loop: Header=BB3_531 Depth=1
	s_or_b32 exec_lo, exec_lo, s5
	v_add_co_u32 v6, vcc_lo, v24, v28
	v_add_co_ci_u32_e64 v7, null, 0, v25, vcc_lo
	s_branch .LBB3_600
	.p2align	6
.LBB3_597:                              ;   in Loop: Header=BB3_600 Depth=2
	s_or_b32 exec_lo, exec_lo, s5
	v_readfirstlane_b32 s5, v2
	s_cmp_eq_u32 s5, 0
	s_cbranch_scc1 .LBB3_599
; %bb.598:                              ;   in Loop: Header=BB3_600 Depth=2
	s_sleep 1
	s_cbranch_execnz .LBB3_600
	s_branch .LBB3_602
	.p2align	6
.LBB3_599:                              ;   in Loop: Header=BB3_531 Depth=1
	s_branch .LBB3_602
.LBB3_600:                              ;   Parent Loop BB3_531 Depth=1
                                        ; =>  This Inner Loop Header: Depth=2
	v_mov_b32_e32 v2, 1
	s_and_saveexec_b32 s5, s4
	s_cbranch_execz .LBB3_597
; %bb.601:                              ;   in Loop: Header=BB3_600 Depth=2
	global_load_dword v2, v[26:27], off offset:20 glc dlc
	s_waitcnt vmcnt(0)
	buffer_gl1_inv
	buffer_gl0_inv
	v_and_b32_e32 v2, 1, v2
	s_branch .LBB3_597
.LBB3_602:                              ;   in Loop: Header=BB3_531 Depth=1
	global_load_dwordx4 v[6:9], v[6:7], off
	s_and_saveexec_b32 s18, s4
	s_cbranch_execz .LBB3_530
; %bb.603:                              ;   in Loop: Header=BB3_531 Depth=1
	s_clause 0x2
	global_load_dwordx2 v[8:9], v3, s[6:7] offset:40
	global_load_dwordx2 v[16:17], v3, s[6:7] offset:24 glc dlc
	global_load_dwordx2 v[10:11], v3, s[6:7]
	s_waitcnt vmcnt(2)
	v_readfirstlane_b32 s22, v8
	v_readfirstlane_b32 s23, v9
	s_add_u32 s19, s22, 1
	s_addc_u32 s20, s23, 0
	s_add_u32 s4, s19, s16
	s_addc_u32 s5, s20, s17
	s_cmp_eq_u64 s[4:5], 0
	s_cselect_b32 s5, s20, s5
	s_cselect_b32 s4, s19, s4
	v_mov_b32_e32 v15, s5
	s_and_b64 s[16:17], s[4:5], s[22:23]
	v_mov_b32_e32 v14, s4
	s_mul_i32 s17, s17, 24
	s_mul_hi_u32 s19, s16, 24
	s_mul_i32 s16, s16, 24
	s_add_i32 s19, s19, s17
	s_waitcnt vmcnt(0)
	v_add_co_u32 v12, vcc_lo, v10, s16
	v_add_co_ci_u32_e64 v13, null, s19, v11, vcc_lo
	global_store_dwordx2 v[12:13], v[16:17], off
	s_waitcnt_vscnt null, 0x0
	global_atomic_cmpswap_x2 v[10:11], v3, v[14:17], s[6:7] offset:24 glc
	s_waitcnt vmcnt(0)
	v_cmp_ne_u64_e32 vcc_lo, v[10:11], v[16:17]
	s_and_b32 exec_lo, exec_lo, vcc_lo
	s_cbranch_execz .LBB3_530
; %bb.604:                              ;   in Loop: Header=BB3_531 Depth=1
	s_mov_b32 s16, 0
.LBB3_605:                              ;   Parent Loop BB3_531 Depth=1
                                        ; =>  This Inner Loop Header: Depth=2
	v_mov_b32_e32 v8, s4
	v_mov_b32_e32 v9, s5
	s_sleep 1
	global_store_dwordx2 v[12:13], v[10:11], off
	s_waitcnt_vscnt null, 0x0
	global_atomic_cmpswap_x2 v[8:9], v3, v[8:11], s[6:7] offset:24 glc
	s_waitcnt vmcnt(0)
	v_cmp_eq_u64_e32 vcc_lo, v[8:9], v[10:11]
	v_mov_b32_e32 v11, v9
	v_mov_b32_e32 v10, v8
	s_or_b32 s16, vcc_lo, s16
	s_andn2_b32 exec_lo, exec_lo, s16
	s_cbranch_execnz .LBB3_605
	s_branch .LBB3_530
.LBB3_606:
	s_mov_b32 s4, 0
	s_branch .LBB3_608
.LBB3_607:
	s_mov_b32 s4, -1
.LBB3_608:
	s_and_b32 vcc_lo, exec_lo, s4
	s_cbranch_vccz .LBB3_636
; %bb.609:
	v_readfirstlane_b32 s4, v29
	s_waitcnt vmcnt(0)
	v_mov_b32_e32 v8, 0
	v_mov_b32_e32 v9, 0
	v_cmp_eq_u32_e64 s4, s4, v29
	s_and_saveexec_b32 s5, s4
	s_cbranch_execz .LBB3_615
; %bb.610:
	v_mov_b32_e32 v2, 0
	s_mov_b32 s10, exec_lo
	global_load_dwordx2 v[5:6], v2, s[6:7] offset:24 glc dlc
	s_waitcnt vmcnt(0)
	buffer_gl1_inv
	buffer_gl0_inv
	s_clause 0x1
	global_load_dwordx2 v[3:4], v2, s[6:7] offset:40
	global_load_dwordx2 v[7:8], v2, s[6:7]
	s_waitcnt vmcnt(1)
	v_and_b32_e32 v4, v4, v6
	v_and_b32_e32 v3, v3, v5
	v_mul_lo_u32 v4, v4, 24
	v_mul_hi_u32 v9, v3, 24
	v_mul_lo_u32 v3, v3, 24
	v_add_nc_u32_e32 v4, v9, v4
	s_waitcnt vmcnt(0)
	v_add_co_u32 v3, vcc_lo, v7, v3
	v_add_co_ci_u32_e64 v4, null, v8, v4, vcc_lo
	global_load_dwordx2 v[3:4], v[3:4], off glc dlc
	s_waitcnt vmcnt(0)
	global_atomic_cmpswap_x2 v[8:9], v2, v[3:6], s[6:7] offset:24 glc
	s_waitcnt vmcnt(0)
	buffer_gl1_inv
	buffer_gl0_inv
	v_cmpx_ne_u64_e64 v[8:9], v[5:6]
	s_cbranch_execz .LBB3_614
; %bb.611:
	s_mov_b32 s11, 0
.LBB3_612:                              ; =>This Inner Loop Header: Depth=1
	s_sleep 1
	s_clause 0x1
	global_load_dwordx2 v[3:4], v2, s[6:7] offset:40
	global_load_dwordx2 v[10:11], v2, s[6:7]
	v_mov_b32_e32 v5, v8
	v_mov_b32_e32 v6, v9
	s_waitcnt vmcnt(1)
	v_and_b32_e32 v3, v3, v5
	v_and_b32_e32 v4, v4, v6
	s_waitcnt vmcnt(0)
	v_mad_u64_u32 v[7:8], null, v3, 24, v[10:11]
	v_mov_b32_e32 v3, v8
	v_mad_u64_u32 v[3:4], null, v4, 24, v[3:4]
	v_mov_b32_e32 v8, v3
	global_load_dwordx2 v[3:4], v[7:8], off glc dlc
	s_waitcnt vmcnt(0)
	global_atomic_cmpswap_x2 v[8:9], v2, v[3:6], s[6:7] offset:24 glc
	s_waitcnt vmcnt(0)
	buffer_gl1_inv
	buffer_gl0_inv
	v_cmp_eq_u64_e32 vcc_lo, v[8:9], v[5:6]
	s_or_b32 s11, vcc_lo, s11
	s_andn2_b32 exec_lo, exec_lo, s11
	s_cbranch_execnz .LBB3_612
; %bb.613:
	s_or_b32 exec_lo, exec_lo, s11
.LBB3_614:
	s_or_b32 exec_lo, exec_lo, s10
.LBB3_615:
	s_or_b32 exec_lo, exec_lo, s5
	v_mov_b32_e32 v2, 0
	v_readfirstlane_b32 s11, v9
	v_readfirstlane_b32 s10, v8
	s_mov_b32 s5, exec_lo
	s_clause 0x1
	global_load_dwordx2 v[10:11], v2, s[6:7] offset:40
	global_load_dwordx4 v[4:7], v2, s[6:7]
	s_waitcnt vmcnt(1)
	v_readfirstlane_b32 s12, v10
	v_readfirstlane_b32 s13, v11
	s_and_b64 s[12:13], s[12:13], s[10:11]
	s_mul_i32 s14, s13, 24
	s_mul_hi_u32 s15, s12, 24
	s_mul_i32 s16, s12, 24
	s_add_i32 s15, s15, s14
	s_waitcnt vmcnt(0)
	v_add_co_u32 v8, vcc_lo, v4, s16
	v_add_co_ci_u32_e64 v9, null, s15, v5, vcc_lo
	s_and_saveexec_b32 s14, s4
	s_cbranch_execz .LBB3_617
; %bb.616:
	v_mov_b32_e32 v10, s5
	v_mov_b32_e32 v11, v2
	;; [unrolled: 1-line block ×4, first 2 shown]
	global_store_dwordx4 v[8:9], v[10:13], off offset:8
.LBB3_617:
	s_or_b32 exec_lo, exec_lo, s14
	s_lshl_b64 s[12:13], s[12:13], 12
	v_and_or_b32 v0, 0xffffff1d, v0, 34
	v_add_co_u32 v6, vcc_lo, v6, s12
	v_add_co_ci_u32_e64 v7, null, s13, v7, vcc_lo
	s_mov_b32 s12, 0
	v_mov_b32_e32 v3, v2
	s_mov_b32 s13, s12
	s_mov_b32 s14, s12
	s_mov_b32 s15, s12
	v_readfirstlane_b32 s16, v6
	v_readfirstlane_b32 s17, v7
	v_mov_b32_e32 v10, s12
	v_mov_b32_e32 v11, s13
	;; [unrolled: 1-line block ×4, first 2 shown]
	global_store_dwordx4 v28, v[0:3], s[16:17]
	global_store_dwordx4 v28, v[10:13], s[16:17] offset:16
	global_store_dwordx4 v28, v[10:13], s[16:17] offset:32
	;; [unrolled: 1-line block ×3, first 2 shown]
	s_and_saveexec_b32 s5, s4
	s_cbranch_execz .LBB3_625
; %bb.618:
	v_mov_b32_e32 v6, 0
	v_mov_b32_e32 v10, s10
	;; [unrolled: 1-line block ×3, first 2 shown]
	s_clause 0x1
	global_load_dwordx2 v[12:13], v6, s[6:7] offset:32 glc dlc
	global_load_dwordx2 v[0:1], v6, s[6:7] offset:40
	s_waitcnt vmcnt(0)
	v_readfirstlane_b32 s12, v0
	v_readfirstlane_b32 s13, v1
	s_and_b64 s[12:13], s[12:13], s[10:11]
	s_mul_i32 s13, s13, 24
	s_mul_hi_u32 s14, s12, 24
	s_mul_i32 s12, s12, 24
	s_add_i32 s14, s14, s13
	v_add_co_u32 v4, vcc_lo, v4, s12
	v_add_co_ci_u32_e64 v5, null, s14, v5, vcc_lo
	s_mov_b32 s12, exec_lo
	global_store_dwordx2 v[4:5], v[12:13], off
	s_waitcnt_vscnt null, 0x0
	global_atomic_cmpswap_x2 v[2:3], v6, v[10:13], s[6:7] offset:32 glc
	s_waitcnt vmcnt(0)
	v_cmpx_ne_u64_e64 v[2:3], v[12:13]
	s_cbranch_execz .LBB3_621
; %bb.619:
	s_mov_b32 s13, 0
.LBB3_620:                              ; =>This Inner Loop Header: Depth=1
	v_mov_b32_e32 v0, s10
	v_mov_b32_e32 v1, s11
	s_sleep 1
	global_store_dwordx2 v[4:5], v[2:3], off
	s_waitcnt_vscnt null, 0x0
	global_atomic_cmpswap_x2 v[0:1], v6, v[0:3], s[6:7] offset:32 glc
	s_waitcnt vmcnt(0)
	v_cmp_eq_u64_e32 vcc_lo, v[0:1], v[2:3]
	v_mov_b32_e32 v3, v1
	v_mov_b32_e32 v2, v0
	s_or_b32 s13, vcc_lo, s13
	s_andn2_b32 exec_lo, exec_lo, s13
	s_cbranch_execnz .LBB3_620
.LBB3_621:
	s_or_b32 exec_lo, exec_lo, s12
	v_mov_b32_e32 v3, 0
	s_mov_b32 s13, exec_lo
	s_mov_b32 s12, exec_lo
	v_mbcnt_lo_u32_b32 v2, s13, 0
	global_load_dwordx2 v[0:1], v3, s[6:7] offset:16
	v_cmpx_eq_u32_e32 0, v2
	s_cbranch_execz .LBB3_623
; %bb.622:
	s_bcnt1_i32_b32 s13, s13
	v_mov_b32_e32 v2, s13
	s_waitcnt vmcnt(0)
	global_atomic_add_x2 v[0:1], v[2:3], off offset:8
.LBB3_623:
	s_or_b32 exec_lo, exec_lo, s12
	s_waitcnt vmcnt(0)
	global_load_dwordx2 v[2:3], v[0:1], off offset:16
	s_waitcnt vmcnt(0)
	v_cmp_eq_u64_e32 vcc_lo, 0, v[2:3]
	s_cbranch_vccnz .LBB3_625
; %bb.624:
	global_load_dword v0, v[0:1], off offset:24
	v_mov_b32_e32 v1, 0
	s_waitcnt vmcnt(0)
	v_readfirstlane_b32 s12, v0
	s_waitcnt_vscnt null, 0x0
	global_store_dwordx2 v[2:3], v[0:1], off
	s_and_b32 m0, s12, 0x7fffff
	s_sendmsg sendmsg(MSG_INTERRUPT)
.LBB3_625:
	s_or_b32 exec_lo, exec_lo, s5
	s_branch .LBB3_629
	.p2align	6
.LBB3_626:                              ;   in Loop: Header=BB3_629 Depth=1
	s_or_b32 exec_lo, exec_lo, s5
	v_readfirstlane_b32 s5, v0
	s_cmp_eq_u32 s5, 0
	s_cbranch_scc1 .LBB3_628
; %bb.627:                              ;   in Loop: Header=BB3_629 Depth=1
	s_sleep 1
	s_cbranch_execnz .LBB3_629
	s_branch .LBB3_631
.LBB3_628:
	s_branch .LBB3_631
.LBB3_629:                              ; =>This Inner Loop Header: Depth=1
	v_mov_b32_e32 v0, 1
	s_and_saveexec_b32 s5, s4
	s_cbranch_execz .LBB3_626
; %bb.630:                              ;   in Loop: Header=BB3_629 Depth=1
	global_load_dword v0, v[8:9], off offset:20 glc dlc
	s_waitcnt vmcnt(0)
	buffer_gl1_inv
	buffer_gl0_inv
	v_and_b32_e32 v0, 1, v0
	s_branch .LBB3_626
.LBB3_631:
	s_and_saveexec_b32 s12, s4
	s_cbranch_execz .LBB3_635
; %bb.632:
	v_mov_b32_e32 v6, 0
	s_clause 0x2
	global_load_dwordx2 v[0:1], v6, s[6:7] offset:40
	global_load_dwordx2 v[9:10], v6, s[6:7] offset:24 glc dlc
	global_load_dwordx2 v[2:3], v6, s[6:7]
	s_waitcnt vmcnt(2)
	v_readfirstlane_b32 s14, v0
	v_readfirstlane_b32 s15, v1
	s_add_u32 s13, s14, 1
	s_addc_u32 s16, s15, 0
	s_add_u32 s4, s13, s10
	s_addc_u32 s5, s16, s11
	s_cmp_eq_u64 s[4:5], 0
	s_cselect_b32 s5, s16, s5
	s_cselect_b32 s4, s13, s4
	v_mov_b32_e32 v8, s5
	s_and_b64 s[10:11], s[4:5], s[14:15]
	v_mov_b32_e32 v7, s4
	s_mul_i32 s11, s11, 24
	s_mul_hi_u32 s13, s10, 24
	s_mul_i32 s10, s10, 24
	s_add_i32 s13, s13, s11
	s_waitcnt vmcnt(0)
	v_add_co_u32 v4, vcc_lo, v2, s10
	v_add_co_ci_u32_e64 v5, null, s13, v3, vcc_lo
	global_store_dwordx2 v[4:5], v[9:10], off
	s_waitcnt_vscnt null, 0x0
	global_atomic_cmpswap_x2 v[2:3], v6, v[7:10], s[6:7] offset:24 glc
	s_waitcnt vmcnt(0)
	v_cmp_ne_u64_e32 vcc_lo, v[2:3], v[9:10]
	s_and_b32 exec_lo, exec_lo, vcc_lo
	s_cbranch_execz .LBB3_635
; %bb.633:
	s_mov_b32 s10, 0
.LBB3_634:                              ; =>This Inner Loop Header: Depth=1
	v_mov_b32_e32 v0, s4
	v_mov_b32_e32 v1, s5
	s_sleep 1
	global_store_dwordx2 v[4:5], v[2:3], off
	s_waitcnt_vscnt null, 0x0
	global_atomic_cmpswap_x2 v[0:1], v6, v[0:3], s[6:7] offset:24 glc
	s_waitcnt vmcnt(0)
	v_cmp_eq_u64_e32 vcc_lo, v[0:1], v[2:3]
	v_mov_b32_e32 v3, v1
	v_mov_b32_e32 v2, v0
	s_or_b32 s10, vcc_lo, s10
	s_andn2_b32 exec_lo, exec_lo, s10
	s_cbranch_execnz .LBB3_634
.LBB3_635:
	s_or_b32 exec_lo, exec_lo, s12
.LBB3_636:
	s_getpc_b64 s[4:5]
	s_add_u32 s4, s4, .str.29@rel32@lo+4
	s_addc_u32 s5, s5, .str.29@rel32@hi+12
	s_getpc_b64 s[6:7]
	s_add_u32 s6, s6, .str.19@rel32@lo+4
	s_addc_u32 s7, s7, .str.19@rel32@hi+12
	s_getpc_b64 s[10:11]
	s_add_u32 s10, s10, __PRETTY_FUNCTION__._ZN7VecsMemIjLi8192EE5fetchEi@rel32@lo+4
	s_addc_u32 s11, s11, __PRETTY_FUNCTION__._ZN7VecsMemIjLi8192EE5fetchEi@rel32@hi+12
	s_waitcnt vmcnt(0)
	v_mov_b32_e32 v0, s4
	v_mov_b32_e32 v1, s5
	;; [unrolled: 1-line block ×7, first 2 shown]
	s_getpc_b64 s[12:13]
	s_add_u32 s12, s12, __assert_fail@rel32@lo+4
	s_addc_u32 s13, s13, __assert_fail@rel32@hi+12
	s_mov_b64 s[22:23], s[8:9]
	s_swappc_b64 s[30:31], s[12:13]
	s_mov_b64 s[8:9], s[22:23]
	s_or_b32 s4, s24, exec_lo
.LBB3_637:
	s_or_b32 exec_lo, exec_lo, s27
	s_andn2_b32 s5, s24, exec_lo
	s_and_b32 s4, s4, exec_lo
	s_andn2_b32 s6, s21, exec_lo
	s_and_b32 s7, s26, exec_lo
	s_or_b32 s24, s5, s4
	s_or_b32 s21, s6, s7
.LBB3_638:
	s_or_b32 exec_lo, exec_lo, s25
	s_andn2_b32 s4, s64, exec_lo
	s_and_b32 s5, s24, exec_lo
	s_and_b32 s6, s21, exec_lo
	s_or_b32 s5, s4, s5
                                        ; implicit-def: $vgpr45_vgpr46
                                        ; implicit-def: $vgpr73
.LBB3_639:
	s_andn2_saveexec_b32 s7, s67
	s_cbranch_execz .LBB3_644
; %bb.640:
	v_mov_b32_e32 v0, 0
	s_mov_b32 s10, 0
	s_mov_b32 s11, exec_lo
	v_mov_b32_e32 v1, v0
	v_mov_b32_e32 v2, v0
	;; [unrolled: 1-line block ×3, first 2 shown]
	flat_store_dwordx4 v[45:46], v[0:3]
	v_cmpx_lt_i32_e32 0, v73
	s_cbranch_execz .LBB3_643
; %bb.641:
	v_add_nc_u32_e32 v1, -1, v73
	v_mov_b32_e32 v2, v0
	v_add_nc_u32_e32 v3, 1, v73
	v_lshlrev_b64 v[1:2], 2, v[1:2]
	v_add_co_u32 v1, vcc_lo, v41, v1
	v_add_co_ci_u32_e64 v2, null, v42, v2, vcc_lo
.LBB3_642:                              ; =>This Inner Loop Header: Depth=1
	v_add_nc_u32_e32 v3, -1, v3
	flat_store_dword v[1:2], v0
	v_add_co_u32 v1, s4, v1, -4
	v_add_co_ci_u32_e64 v2, null, -1, v2, s4
	v_cmp_gt_u32_e32 vcc_lo, 2, v3
	s_or_b32 s10, vcc_lo, s10
	s_andn2_b32 exec_lo, exec_lo, s10
	s_cbranch_execnz .LBB3_642
.LBB3_643:
	s_or_b32 exec_lo, exec_lo, s11
	s_or_b32 s6, s6, exec_lo
.LBB3_644:
	s_or_b32 exec_lo, exec_lo, s7
	s_and_saveexec_b32 s4, s6
	s_xor_b32 s4, exec_lo, s4
	s_or_b32 exec_lo, exec_lo, s4
	s_andn2_b32 s4, s64, exec_lo
	s_and_b32 s5, s5, exec_lo
	s_or_b32 s21, s4, s5
.LBB3_645:
	s_andn2_saveexec_b32 s22, s66
	s_cbranch_execz .LBB3_647
; %bb.646:
	s_getpc_b64 s[4:5]
	s_add_u32 s4, s4, .str.17@rel32@lo+4
	s_addc_u32 s5, s5, .str.17@rel32@hi+12
	s_getpc_b64 s[6:7]
	s_add_u32 s6, s6, .str.16@rel32@lo+4
	s_addc_u32 s7, s7, .str.16@rel32@hi+12
	s_getpc_b64 s[10:11]
	s_add_u32 s10, s10, __PRETTY_FUNCTION__._ZN3sop13minatoIsopRecEPKjS1_iPNS_3SopEP7VecsMemIjLi8192EE@rel32@lo+4
	s_addc_u32 s11, s11, __PRETTY_FUNCTION__._ZN3sop13minatoIsopRecEPKjS1_iPNS_3SopEP7VecsMemIjLi8192EE@rel32@hi+12
	v_mov_b32_e32 v0, s4
	v_mov_b32_e32 v1, s5
	;; [unrolled: 1-line block ×7, first 2 shown]
	s_getpc_b64 s[12:13]
	s_add_u32 s12, s12, __assert_fail@rel32@lo+4
	s_addc_u32 s13, s13, __assert_fail@rel32@hi+12
	s_swappc_b64 s[30:31], s[12:13]
	s_or_b32 s21, s21, exec_lo
.LBB3_647:
	s_or_b32 exec_lo, exec_lo, s22
	s_andn2_b32 s4, s64, exec_lo
	s_and_b32 s5, s21, exec_lo
	s_or_b32 s64, s4, s5
	s_or_b32 exec_lo, exec_lo, s65
	s_and_saveexec_b32 s4, s64
	s_cbranch_execnz .LBB3_3
	s_branch .LBB3_4
.Lfunc_end3:
	.size	_ZN3sop13minatoIsopRecEPKjS1_iPNS_3SopEP7VecsMemIjLi8192EE, .Lfunc_end3-_ZN3sop13minatoIsopRecEPKjS1_iPNS_3SopEP7VecsMemIjLi8192EE
                                        ; -- End function
	.set .L_ZN3sop13minatoIsopRecEPKjS1_iPNS_3SopEP7VecsMemIjLi8192EE.num_vgpr, max(80, .L__assert_fail.num_vgpr, .L_ZN3sop14minatoIsop5RecEjjiPNS_3SopEP7VecsMemIjLi8192EE.num_vgpr)
	.set .L_ZN3sop13minatoIsopRecEPKjS1_iPNS_3SopEP7VecsMemIjLi8192EE.num_agpr, max(0, .L__assert_fail.num_agpr, .L_ZN3sop14minatoIsop5RecEjjiPNS_3SopEP7VecsMemIjLi8192EE.num_agpr)
	.set .L_ZN3sop13minatoIsopRecEPKjS1_iPNS_3SopEP7VecsMemIjLi8192EE.numbered_sgpr, max(83, .L__assert_fail.numbered_sgpr, .L_ZN3sop14minatoIsop5RecEjjiPNS_3SopEP7VecsMemIjLi8192EE.numbered_sgpr)
	.set .L_ZN3sop13minatoIsopRecEPKjS1_iPNS_3SopEP7VecsMemIjLi8192EE.num_named_barrier, max(0, .L__assert_fail.num_named_barrier, .L_ZN3sop14minatoIsop5RecEjjiPNS_3SopEP7VecsMemIjLi8192EE.num_named_barrier)
	.set .L_ZN3sop13minatoIsopRecEPKjS1_iPNS_3SopEP7VecsMemIjLi8192EE.private_seg_size, 160+max(.L__assert_fail.private_seg_size, .L_ZN3sop14minatoIsop5RecEjjiPNS_3SopEP7VecsMemIjLi8192EE.private_seg_size)
	.set .L_ZN3sop13minatoIsopRecEPKjS1_iPNS_3SopEP7VecsMemIjLi8192EE.uses_vcc, or(1, .L__assert_fail.uses_vcc, .L_ZN3sop14minatoIsop5RecEjjiPNS_3SopEP7VecsMemIjLi8192EE.uses_vcc)
	.set .L_ZN3sop13minatoIsopRecEPKjS1_iPNS_3SopEP7VecsMemIjLi8192EE.uses_flat_scratch, or(1, .L__assert_fail.uses_flat_scratch, .L_ZN3sop14minatoIsop5RecEjjiPNS_3SopEP7VecsMemIjLi8192EE.uses_flat_scratch)
	.set .L_ZN3sop13minatoIsopRecEPKjS1_iPNS_3SopEP7VecsMemIjLi8192EE.has_dyn_sized_stack, or(0, .L__assert_fail.has_dyn_sized_stack, .L_ZN3sop14minatoIsop5RecEjjiPNS_3SopEP7VecsMemIjLi8192EE.has_dyn_sized_stack)
	.set .L_ZN3sop13minatoIsopRecEPKjS1_iPNS_3SopEP7VecsMemIjLi8192EE.has_recursion, or(1, .L__assert_fail.has_recursion, .L_ZN3sop14minatoIsop5RecEjjiPNS_3SopEP7VecsMemIjLi8192EE.has_recursion)
	.set .L_ZN3sop13minatoIsopRecEPKjS1_iPNS_3SopEP7VecsMemIjLi8192EE.has_indirect_call, or(0, .L__assert_fail.has_indirect_call, .L_ZN3sop14minatoIsop5RecEjjiPNS_3SopEP7VecsMemIjLi8192EE.has_indirect_call)
	.section	.AMDGPU.csdata,"",@progbits
; Function info:
; codeLenInByte = 25068
; TotalNumSgprs: 85
; NumVgprs: 80
; ScratchSize: 336
; MemoryBound: 0
	.text
	.p2align	2                               ; -- Begin function _ZN3sop23sopFactorTrivialCubeRecEjiiPN8subgUtil4SubgILi256EEE
	.type	_ZN3sop23sopFactorTrivialCubeRecEjiiPN8subgUtil4SubgILi256EEE,@function
_ZN3sop23sopFactorTrivialCubeRecEjiiPN8subgUtil4SubgILi256EEE: ; @_ZN3sop23sopFactorTrivialCubeRecEjiiPN8subgUtil4SubgILi256EEE
; %bb.0:
	s_waitcnt vmcnt(0) expcnt(0) lgkmcnt(0)
	s_mov_b32 s4, s33
	s_mov_b32 s33, s32
	s_or_saveexec_b32 s5, -1
	buffer_store_dword v46, off, s[0:3], s33 offset:24 ; 4-byte Folded Spill
	s_mov_b32 exec_lo, s5
	v_writelane_b32 v46, s4, 11
	s_addk_i32 s32, 0x400
	buffer_store_dword v40, off, s[0:3], s33 offset:20 ; 4-byte Folded Spill
	buffer_store_dword v41, off, s[0:3], s33 offset:16 ; 4-byte Folded Spill
	;; [unrolled: 1-line block ×5, first 2 shown]
	buffer_store_dword v45, off, s[0:3], s33 ; 4-byte Folded Spill
	v_writelane_b32 v46, s34, 0
	v_writelane_b32 v46, s35, 1
	;; [unrolled: 1-line block ×11, first 2 shown]
	v_mov_b32_e32 v41, v4
	v_mov_b32_e32 v40, v3
	s_mov_b32 s21, 0
                                        ; implicit-def: $vgpr52
	s_mov_b32 s4, exec_lo
	v_cmpx_ne_u32_e32 0, v0
	s_xor_b32 s38, exec_lo, s4
	s_cbranch_execnz .LBB4_5
; %bb.1:
	s_andn2_saveexec_b32 s22, s38
	s_cbranch_execnz .LBB4_34
.LBB4_2:
	s_or_b32 exec_lo, exec_lo, s22
	s_and_saveexec_b32 s4, s21
.LBB4_3:
	; divergent unreachable
.LBB4_4:
	s_or_b32 exec_lo, exec_lo, s4
	s_clause 0x5
	buffer_load_dword v45, off, s[0:3], s33
	buffer_load_dword v44, off, s[0:3], s33 offset:4
	buffer_load_dword v43, off, s[0:3], s33 offset:8
	;; [unrolled: 1-line block ×5, first 2 shown]
	v_readlane_b32 s30, v46, 9
	v_mov_b32_e32 v0, v52
	v_readlane_b32 s31, v46, 10
	v_readlane_b32 s51, v46, 8
	;; [unrolled: 1-line block ×10, first 2 shown]
	s_mov_b32 s32, s33
	v_readlane_b32 s4, v46, 11
	s_or_saveexec_b32 s5, -1
	buffer_load_dword v46, off, s[0:3], s33 offset:24 ; 4-byte Folded Reload
	s_mov_b32 exec_lo, s5
	s_mov_b32 s33, s4
	s_waitcnt vmcnt(0) lgkmcnt(0)
	s_setpc_b64 s[30:31]
.LBB4_5:
	v_cmp_lt_i32_e32 vcc_lo, v1, v2
	v_mov_b32_e32 v52, -1
	v_mov_b32_e32 v3, 0
	s_and_saveexec_b32 s5, vcc_lo
	s_cbranch_execz .LBB4_9
; %bb.6:
	v_mov_b32_e32 v52, -1
	v_mov_b32_e32 v3, 0
	v_mov_b32_e32 v4, v1
	s_mov_b32 s6, 0
.LBB4_7:                                ; =>This Inner Loop Header: Depth=1
	v_lshrrev_b32_e32 v5, v4, v0
	v_bfe_u32 v6, v0, v4, 1
	v_and_b32_e32 v5, 1, v5
	v_add_nc_u32_e32 v3, v3, v6
	v_cmp_eq_u32_e64 s4, 1, v5
	v_cndmask_b32_e64 v52, v52, v4, s4
	v_add_nc_u32_e32 v4, 1, v4
	v_cmp_ge_i32_e64 s4, v4, v2
	s_or_b32 s6, s4, s6
	s_andn2_b32 exec_lo, exec_lo, s6
	s_cbranch_execnz .LBB4_7
; %bb.8:
	s_or_b32 exec_lo, exec_lo, s6
.LBB4_9:
	s_or_b32 exec_lo, exec_lo, s5
	s_mov_b32 s21, 0
	s_mov_b32 s5, exec_lo
	v_cmpx_ne_u32_e32 -1, v52
	s_xor_b32 s39, exec_lo, s5
	s_cbranch_execz .LBB4_31
; %bb.10:
	s_mov_b32 s5, 0
	s_mov_b32 s48, exec_lo
	v_cmpx_ne_u32_e32 1, v3
	s_cbranch_execz .LBB4_30
; %bb.11:
	v_mov_b32_e32 v43, v1
	s_and_saveexec_b32 s4, vcc_lo
	s_cbranch_execz .LBB4_21
; %bb.12:
	v_lshrrev_b32_e32 v3, 1, v3
	v_mov_b32_e32 v4, 0
	v_mov_b32_e32 v5, v1
	s_inst_prefetch 0x1
	s_branch .LBB4_14
	.p2align	6
.LBB4_13:                               ;   in Loop: Header=BB4_14 Depth=1
	s_or_b32 exec_lo, exec_lo, s7
	v_mov_b32_e32 v43, v5
	v_mov_b32_e32 v5, v6
	s_and_b32 s6, exec_lo, s6
	s_or_b32 s5, s6, s5
	s_andn2_b32 exec_lo, exec_lo, s5
	s_cbranch_execz .LBB4_20
.LBB4_14:                               ; =>This Inner Loop Header: Depth=1
	v_lshrrev_b32_e32 v6, v5, v0
	s_mov_b32 s6, -1
	s_mov_b32 s10, -1
	s_mov_b32 s7, exec_lo
	v_and_b32_e32 v6, 1, v6
	v_cmpx_eq_u32_e32 1, v6
	s_cbranch_execz .LBB4_18
; %bb.15:                               ;   in Loop: Header=BB4_14 Depth=1
	s_mov_b32 s10, 0
	s_mov_b32 s11, exec_lo
	v_cmpx_ne_u32_e64 v4, v3
; %bb.16:                               ;   in Loop: Header=BB4_14 Depth=1
	v_add_nc_u32_e32 v4, 1, v4
	s_mov_b32 s10, exec_lo
; %bb.17:                               ;   in Loop: Header=BB4_14 Depth=1
	s_or_b32 exec_lo, exec_lo, s11
	s_orn2_b32 s10, s10, exec_lo
.LBB4_18:                               ;   in Loop: Header=BB4_14 Depth=1
	s_or_b32 exec_lo, exec_lo, s7
                                        ; implicit-def: $vgpr6
	s_and_saveexec_b32 s7, s10
	s_cbranch_execz .LBB4_13
; %bb.19:                               ;   in Loop: Header=BB4_14 Depth=1
	v_add_nc_u32_e32 v6, 1, v5
	v_mov_b32_e32 v5, v2
	v_cmp_ge_i32_e32 vcc_lo, v6, v2
	s_orn2_b32 s6, vcc_lo, exec_lo
	s_branch .LBB4_13
.LBB4_20:
	s_inst_prefetch 0x2
	s_or_b32 exec_lo, exec_lo, s5
.LBB4_21:
	s_or_b32 exec_lo, exec_lo, s4
	v_mov_b32_e32 v44, v2
	v_mov_b32_e32 v2, v43
	;; [unrolled: 1-line block ×4, first 2 shown]
	s_getpc_b64 s[50:51]
	s_add_u32 s50, s50, _ZN3sop23sopFactorTrivialCubeRecEjiiPN8subgUtil4SubgILi256EEE@rel32@lo+4
	s_addc_u32 s51, s51, _ZN3sop23sopFactorTrivialCubeRecEjiiPN8subgUtil4SubgILi256EEE@rel32@hi+12
	v_mov_b32_e32 v45, v0
	s_mov_b64 s[36:37], s[8:9]
	s_swappc_b64 s[30:31], s[50:51]
	v_mov_b32_e32 v42, v0
	v_mov_b32_e32 v0, v45
	;; [unrolled: 1-line block ×6, first 2 shown]
	s_mov_b64 s[8:9], s[36:37]
	s_mov_b64 s[34:35], s[36:37]
	s_swappc_b64 s[30:31], s[50:51]
	flat_load_dword v1, v[40:41]
	s_mov_b32 s21, 0
	s_mov_b32 s4, exec_lo
	s_waitcnt vmcnt(0) lgkmcnt(0)
	v_cmpx_lt_i32_e32 0xff, v1
	s_xor_b32 s22, exec_lo, s4
	s_cbranch_execz .LBB4_23
; %bb.22:
	s_getpc_b64 s[4:5]
	s_add_u32 s4, s4, .str.43@rel32@lo+4
	s_addc_u32 s5, s5, .str.43@rel32@hi+12
	s_getpc_b64 s[6:7]
	s_add_u32 s6, s6, .str.44@rel32@lo+4
	s_addc_u32 s7, s7, .str.44@rel32@hi+12
	s_getpc_b64 s[8:9]
	s_add_u32 s8, s8, __PRETTY_FUNCTION__._ZN8subgUtil4SubgILi256EE10addNodeAndEii@rel32@lo+4
	s_addc_u32 s9, s9, __PRETTY_FUNCTION__._ZN8subgUtil4SubgILi256EE10addNodeAndEii@rel32@hi+12
	v_mov_b32_e32 v0, s4
	v_mov_b32_e32 v1, s5
	;; [unrolled: 1-line block ×7, first 2 shown]
	s_getpc_b64 s[10:11]
	s_add_u32 s10, s10, __assert_fail@rel32@lo+4
	s_addc_u32 s11, s11, __assert_fail@rel32@hi+12
	s_mov_b64 s[8:9], s[34:35]
	s_swappc_b64 s[30:31], s[10:11]
	s_mov_b32 s21, exec_lo
                                        ; implicit-def: $vgpr0
                                        ; implicit-def: $vgpr42
                                        ; implicit-def: $vgpr1
                                        ; implicit-def: $vgpr40_vgpr41
.LBB4_23:
	s_or_saveexec_b32 s22, s22
	s_mov_b64 s[8:9], s[34:35]
                                        ; implicit-def: $vgpr52
	s_xor_b32 exec_lo, exec_lo, s22
	s_cbranch_execz .LBB4_29
; %bb.24:
	v_or_b32_e32 v2, v0, v42
	s_mov_b32 s4, exec_lo
                                        ; implicit-def: $vgpr52
	v_cmpx_lt_i32_e32 -1, v2
	s_xor_b32 s4, exec_lo, s4
	s_cbranch_execz .LBB4_26
; %bb.25:
	v_ashrrev_i32_e32 v2, 31, v1
	v_max_i32_e32 v4, v42, v0
	v_min_i32_e32 v5, v42, v0
	v_add_nc_u32_e32 v0, 1, v1
	v_lshlrev_b32_e32 v52, 1, v1
	v_lshlrev_b64 v[2:3], 3, v[1:2]
	v_lshlrev_b32_e32 v4, 1, v4
	v_add_co_u32 v2, vcc_lo, v40, v2
	v_add_co_ci_u32_e64 v3, null, v41, v3, vcc_lo
	flat_store_dword v[40:41], v0
	flat_store_dwordx2 v[2:3], v[4:5] offset:8
.LBB4_26:
	s_or_saveexec_b32 s23, s4
	s_mov_b32 s4, s21
	s_xor_b32 exec_lo, exec_lo, s23
	s_cbranch_execz .LBB4_28
; %bb.27:
	s_getpc_b64 s[4:5]
	s_add_u32 s4, s4, .str.46@rel32@lo+4
	s_addc_u32 s5, s5, .str.46@rel32@hi+12
	s_getpc_b64 s[6:7]
	s_add_u32 s6, s6, .str.44@rel32@lo+4
	s_addc_u32 s7, s7, .str.44@rel32@hi+12
	s_getpc_b64 s[8:9]
	s_add_u32 s8, s8, __PRETTY_FUNCTION__._ZN8subgUtil18formAndNodeKeyFlagEiii@rel32@lo+4
	s_addc_u32 s9, s9, __PRETTY_FUNCTION__._ZN8subgUtil18formAndNodeKeyFlagEiii@rel32@hi+12
	v_mov_b32_e32 v0, s4
	v_mov_b32_e32 v1, s5
	;; [unrolled: 1-line block ×7, first 2 shown]
	s_getpc_b64 s[10:11]
	s_add_u32 s10, s10, __assert_fail@rel32@lo+4
	s_addc_u32 s11, s11, __assert_fail@rel32@hi+12
	s_mov_b64 s[8:9], s[34:35]
	s_swappc_b64 s[30:31], s[10:11]
	s_mov_b64 s[8:9], s[34:35]
	s_or_b32 s4, s21, exec_lo
.LBB4_28:
	s_or_b32 exec_lo, exec_lo, s23
	s_andn2_b32 s5, s21, exec_lo
	s_and_b32 s4, s4, exec_lo
	s_or_b32 s21, s5, s4
.LBB4_29:
	s_or_b32 exec_lo, exec_lo, s22
	s_and_b32 s5, s21, exec_lo
.LBB4_30:
	s_or_b32 exec_lo, exec_lo, s48
	s_and_b32 s21, s5, exec_lo
.LBB4_31:
	s_andn2_saveexec_b32 s24, s39
	s_cbranch_execz .LBB4_33
; %bb.32:
	s_getpc_b64 s[4:5]
	s_add_u32 s4, s4, .str.37@rel32@lo+4
	s_addc_u32 s5, s5, .str.37@rel32@hi+12
	s_getpc_b64 s[6:7]
	s_add_u32 s6, s6, .str.31@rel32@lo+4
	s_addc_u32 s7, s7, .str.31@rel32@hi+12
	s_getpc_b64 s[10:11]
	s_add_u32 s10, s10, __PRETTY_FUNCTION__._ZN3sop23sopFactorTrivialCubeRecEjiiPN8subgUtil4SubgILi256EEE@rel32@lo+4
	s_addc_u32 s11, s11, __PRETTY_FUNCTION__._ZN3sop23sopFactorTrivialCubeRecEjiiPN8subgUtil4SubgILi256EEE@rel32@hi+12
	v_mov_b32_e32 v0, s4
	v_mov_b32_e32 v1, s5
	;; [unrolled: 1-line block ×7, first 2 shown]
	s_getpc_b64 s[12:13]
	s_add_u32 s12, s12, __assert_fail@rel32@lo+4
	s_addc_u32 s13, s13, __assert_fail@rel32@hi+12
	s_mov_b64 s[22:23], s[8:9]
	s_swappc_b64 s[30:31], s[12:13]
	s_mov_b64 s[8:9], s[22:23]
	s_or_b32 s21, s21, exec_lo
.LBB4_33:
	s_or_b32 exec_lo, exec_lo, s24
	s_and_b32 s21, s21, exec_lo
	s_andn2_saveexec_b32 s22, s38
	s_cbranch_execz .LBB4_2
.LBB4_34:
	s_getpc_b64 s[4:5]
	s_add_u32 s4, s4, .str.36@rel32@lo+4
	s_addc_u32 s5, s5, .str.36@rel32@hi+12
	s_getpc_b64 s[6:7]
	s_add_u32 s6, s6, .str.31@rel32@lo+4
	s_addc_u32 s7, s7, .str.31@rel32@hi+12
	s_getpc_b64 s[10:11]
	s_add_u32 s10, s10, __PRETTY_FUNCTION__._ZN3sop23sopFactorTrivialCubeRecEjiiPN8subgUtil4SubgILi256EEE@rel32@lo+4
	s_addc_u32 s11, s11, __PRETTY_FUNCTION__._ZN3sop23sopFactorTrivialCubeRecEjiiPN8subgUtil4SubgILi256EEE@rel32@hi+12
	v_mov_b32_e32 v0, s4
	v_mov_b32_e32 v1, s5
	;; [unrolled: 1-line block ×7, first 2 shown]
	s_getpc_b64 s[12:13]
	s_add_u32 s12, s12, __assert_fail@rel32@lo+4
	s_addc_u32 s13, s13, __assert_fail@rel32@hi+12
	s_swappc_b64 s[30:31], s[12:13]
	s_or_b32 s21, s21, exec_lo
	s_or_b32 exec_lo, exec_lo, s22
	s_and_saveexec_b32 s4, s21
	s_cbranch_execnz .LBB4_3
	s_branch .LBB4_4
.Lfunc_end4:
	.size	_ZN3sop23sopFactorTrivialCubeRecEjiiPN8subgUtil4SubgILi256EEE, .Lfunc_end4-_ZN3sop23sopFactorTrivialCubeRecEjiiPN8subgUtil4SubgILi256EEE
                                        ; -- End function
	.set .L_ZN3sop23sopFactorTrivialCubeRecEjiiPN8subgUtil4SubgILi256EEE.num_vgpr, max(53, .L__assert_fail.num_vgpr)
	.set .L_ZN3sop23sopFactorTrivialCubeRecEjiiPN8subgUtil4SubgILi256EEE.num_agpr, max(0, .L__assert_fail.num_agpr)
	.set .L_ZN3sop23sopFactorTrivialCubeRecEjiiPN8subgUtil4SubgILi256EEE.numbered_sgpr, max(52, .L__assert_fail.numbered_sgpr)
	.set .L_ZN3sop23sopFactorTrivialCubeRecEjiiPN8subgUtil4SubgILi256EEE.num_named_barrier, max(0, .L__assert_fail.num_named_barrier)
	.set .L_ZN3sop23sopFactorTrivialCubeRecEjiiPN8subgUtil4SubgILi256EEE.private_seg_size, 32+max(.L__assert_fail.private_seg_size)
	.set .L_ZN3sop23sopFactorTrivialCubeRecEjiiPN8subgUtil4SubgILi256EEE.uses_vcc, or(1, .L__assert_fail.uses_vcc)
	.set .L_ZN3sop23sopFactorTrivialCubeRecEjiiPN8subgUtil4SubgILi256EEE.uses_flat_scratch, or(0, .L__assert_fail.uses_flat_scratch)
	.set .L_ZN3sop23sopFactorTrivialCubeRecEjiiPN8subgUtil4SubgILi256EEE.has_dyn_sized_stack, or(0, .L__assert_fail.has_dyn_sized_stack)
	.set .L_ZN3sop23sopFactorTrivialCubeRecEjiiPN8subgUtil4SubgILi256EEE.has_recursion, or(1, .L__assert_fail.has_recursion)
	.set .L_ZN3sop23sopFactorTrivialCubeRecEjiiPN8subgUtil4SubgILi256EEE.has_indirect_call, or(0, .L__assert_fail.has_indirect_call)
	.section	.AMDGPU.csdata,"",@progbits
; Function info:
; codeLenInByte = 1572
; TotalNumSgprs: 54
; NumVgprs: 53
; ScratchSize: 96
; MemoryBound: 0
	.text
	.p2align	2                               ; -- Begin function _ZN3sop19sopFactorTrivialRecEPjiiPN8subgUtil4SubgILi256EEE
	.type	_ZN3sop19sopFactorTrivialRecEPjiiPN8subgUtil4SubgILi256EEE,@function
_ZN3sop19sopFactorTrivialRecEPjiiPN8subgUtil4SubgILi256EEE: ; @_ZN3sop19sopFactorTrivialRecEPjiiPN8subgUtil4SubgILi256EEE
; %bb.0:
	s_waitcnt vmcnt(0) expcnt(0) lgkmcnt(0)
	s_mov_b32 s4, s33
	s_mov_b32 s33, s32
	s_or_saveexec_b32 s5, -1
	buffer_store_dword v57, off, s[0:3], s33 offset:36 ; 4-byte Folded Spill
	s_mov_b32 exec_lo, s5
	v_writelane_b32 v57, s4, 12
	s_addk_i32 s32, 0x600
	buffer_store_dword v40, off, s[0:3], s33 offset:32 ; 4-byte Folded Spill
	buffer_store_dword v41, off, s[0:3], s33 offset:28 ; 4-byte Folded Spill
	;; [unrolled: 1-line block ×8, first 2 shown]
	buffer_store_dword v56, off, s[0:3], s33 ; 4-byte Folded Spill
	v_writelane_b32 v57, s34, 0
	v_writelane_b32 v57, s35, 1
	;; [unrolled: 1-line block ×12, first 2 shown]
	v_mov_b32_e32 v41, v5
	v_mov_b32_e32 v40, v4
	;; [unrolled: 1-line block ×4, first 2 shown]
	s_mov_b64 s[34:35], s[8:9]
                                        ; implicit-def: $vgpr52
	s_mov_b32 s4, exec_lo
	v_cmpx_ne_u32_e32 1, v2
	s_xor_b32 s36, exec_lo, s4
	s_cbranch_execz .LBB5_6
; %bb.1:
	v_lshrrev_b32_e32 v0, 31, v2
	v_mov_b32_e32 v1, v43
	v_mov_b32_e32 v4, v40
	v_mov_b32_e32 v5, v41
	s_getpc_b64 s[38:39]
	s_add_u32 s38, s38, _ZN3sop19sopFactorTrivialRecEPjiiPN8subgUtil4SubgILi256EEE@rel32@lo+4
	s_addc_u32 s39, s39, _ZN3sop19sopFactorTrivialRecEPjiiPN8subgUtil4SubgILi256EEE@rel32@hi+12
	v_add_nc_u32_e32 v0, v2, v0
	s_mov_b64 s[8:9], s[34:35]
	v_mov_b32_e32 v56, v3
	v_ashrrev_i32_e32 v45, 1, v0
	v_mov_b32_e32 v0, v42
	v_sub_nc_u32_e32 v47, v2, v45
	v_mov_b32_e32 v2, v45
	s_swappc_b64 s[30:31], s[38:39]
	v_ashrrev_i32_e32 v46, 31, v45
	v_mov_b32_e32 v44, v0
	v_mov_b32_e32 v2, v47
	;; [unrolled: 1-line block ×4, first 2 shown]
	v_lshlrev_b64 v[0:1], 2, v[45:46]
	v_mov_b32_e32 v5, v41
	s_mov_b64 s[8:9], s[34:35]
	v_add_co_u32 v0, vcc_lo, v42, v0
	v_add_co_ci_u32_e64 v1, null, v43, v1, vcc_lo
	s_swappc_b64 s[30:31], s[38:39]
	flat_load_dword v1, v[40:41]
	s_mov_b32 s21, 0
	s_mov_b32 s4, exec_lo
	s_waitcnt vmcnt(0) lgkmcnt(0)
	v_cmpx_lt_i32_e32 0xff, v1
	s_xor_b32 s22, exec_lo, s4
	s_cbranch_execnz .LBB5_9
; %bb.2:
	s_or_saveexec_b32 s22, s22
                                        ; implicit-def: $vgpr52
	s_xor_b32 exec_lo, exec_lo, s22
	s_cbranch_execnz .LBB5_10
.LBB5_3:
	s_or_b32 exec_lo, exec_lo, s22
	s_and_saveexec_b32 s4, s21
.LBB5_4:
	; divergent unreachable
.LBB5_5:
	s_or_b32 exec_lo, exec_lo, s4
                                        ; implicit-def: $vgpr42_vgpr43
                                        ; implicit-def: $vgpr40
                                        ; implicit-def: $vgpr3
.LBB5_6:
	s_andn2_saveexec_b32 s49, s36
	s_cbranch_execz .LBB5_8
; %bb.7:
	flat_load_dword v0, v[42:43]
	v_mov_b32_e32 v1, 0
	v_mov_b32_e32 v2, v3
	;; [unrolled: 1-line block ×4, first 2 shown]
	s_getpc_b64 s[4:5]
	s_add_u32 s4, s4, _ZN3sop23sopFactorTrivialCubeRecEjiiPN8subgUtil4SubgILi256EEE@rel32@lo+4
	s_addc_u32 s5, s5, _ZN3sop23sopFactorTrivialCubeRecEjiiPN8subgUtil4SubgILi256EEE@rel32@hi+12
	s_mov_b64 s[8:9], s[34:35]
	s_swappc_b64 s[30:31], s[4:5]
	v_mov_b32_e32 v52, v0
.LBB5_8:
	s_or_b32 exec_lo, exec_lo, s49
	s_clause 0x8
	buffer_load_dword v56, off, s[0:3], s33
	buffer_load_dword v47, off, s[0:3], s33 offset:4
	buffer_load_dword v46, off, s[0:3], s33 offset:8
	;; [unrolled: 1-line block ×8, first 2 shown]
	v_readlane_b32 s30, v57, 10
	v_mov_b32_e32 v0, v52
	v_readlane_b32 s31, v57, 11
	v_readlane_b32 s51, v57, 9
	;; [unrolled: 1-line block ×11, first 2 shown]
	s_mov_b32 s32, s33
	v_readlane_b32 s4, v57, 12
	s_or_saveexec_b32 s5, -1
	buffer_load_dword v57, off, s[0:3], s33 offset:36 ; 4-byte Folded Reload
	s_mov_b32 exec_lo, s5
	s_mov_b32 s33, s4
	s_waitcnt vmcnt(0) lgkmcnt(0)
	s_setpc_b64 s[30:31]
.LBB5_9:
	s_getpc_b64 s[4:5]
	s_add_u32 s4, s4, .str.43@rel32@lo+4
	s_addc_u32 s5, s5, .str.43@rel32@hi+12
	s_getpc_b64 s[6:7]
	s_add_u32 s6, s6, .str.44@rel32@lo+4
	s_addc_u32 s7, s7, .str.44@rel32@hi+12
	s_getpc_b64 s[8:9]
	s_add_u32 s8, s8, __PRETTY_FUNCTION__._ZN8subgUtil4SubgILi256EE9addNodeOrEii@rel32@lo+4
	s_addc_u32 s9, s9, __PRETTY_FUNCTION__._ZN8subgUtil4SubgILi256EE9addNodeOrEii@rel32@hi+12
	v_mov_b32_e32 v0, s4
	v_mov_b32_e32 v1, s5
	;; [unrolled: 1-line block ×7, first 2 shown]
	s_getpc_b64 s[10:11]
	s_add_u32 s10, s10, __assert_fail@rel32@lo+4
	s_addc_u32 s11, s11, __assert_fail@rel32@hi+12
	s_mov_b64 s[8:9], s[34:35]
	s_swappc_b64 s[30:31], s[10:11]
	s_mov_b32 s21, exec_lo
                                        ; implicit-def: $vgpr0
                                        ; implicit-def: $vgpr44
                                        ; implicit-def: $vgpr40_vgpr41
	s_or_saveexec_b32 s22, s22
                                        ; implicit-def: $vgpr52
	s_xor_b32 exec_lo, exec_lo, s22
	s_cbranch_execz .LBB5_3
.LBB5_10:
	v_min_i32_e32 v34, v44, v0
	v_max_i32_e32 v3, v44, v0
	v_xor_b32_e32 v30, 1, v34
	v_xor_b32_e32 v31, 1, v3
	v_cmp_gt_i32_e64 s4, v30, v31
	s_and_saveexec_b32 s20, s4
	s_cbranch_execz .LBB5_195
; %bb.11:
	s_load_dwordx2 s[6:7], s[34:35], 0x50
	v_mbcnt_lo_u32_b32 v33, -1, 0
	v_mov_b32_e32 v1, 0
	v_mov_b32_e32 v2, 0
	v_readfirstlane_b32 s5, v33
	v_cmp_eq_u32_e64 s5, s5, v33
	s_and_saveexec_b32 s8, s5
	s_cbranch_execz .LBB5_17
; %bb.12:
	v_mov_b32_e32 v4, 0
	s_mov_b32 s9, exec_lo
	s_waitcnt lgkmcnt(0)
	global_load_dwordx2 v[7:8], v4, s[6:7] offset:24 glc dlc
	s_waitcnt vmcnt(0)
	buffer_gl1_inv
	buffer_gl0_inv
	s_clause 0x1
	global_load_dwordx2 v[1:2], v4, s[6:7] offset:40
	global_load_dwordx2 v[5:6], v4, s[6:7]
	s_waitcnt vmcnt(1)
	v_and_b32_e32 v2, v2, v8
	v_and_b32_e32 v1, v1, v7
	v_mul_lo_u32 v2, v2, 24
	v_mul_hi_u32 v9, v1, 24
	v_mul_lo_u32 v1, v1, 24
	v_add_nc_u32_e32 v2, v9, v2
	s_waitcnt vmcnt(0)
	v_add_co_u32 v1, vcc_lo, v5, v1
	v_add_co_ci_u32_e64 v2, null, v6, v2, vcc_lo
	global_load_dwordx2 v[5:6], v[1:2], off glc dlc
	s_waitcnt vmcnt(0)
	global_atomic_cmpswap_x2 v[1:2], v4, v[5:8], s[6:7] offset:24 glc
	s_waitcnt vmcnt(0)
	buffer_gl1_inv
	buffer_gl0_inv
	v_cmpx_ne_u64_e64 v[1:2], v[7:8]
	s_cbranch_execz .LBB5_16
; %bb.13:
	s_mov_b32 s10, 0
	.p2align	6
.LBB5_14:                               ; =>This Inner Loop Header: Depth=1
	s_sleep 1
	s_clause 0x1
	global_load_dwordx2 v[5:6], v4, s[6:7] offset:40
	global_load_dwordx2 v[9:10], v4, s[6:7]
	v_mov_b32_e32 v8, v2
	v_mov_b32_e32 v7, v1
	s_waitcnt vmcnt(1)
	v_and_b32_e32 v1, v5, v7
	v_and_b32_e32 v5, v6, v8
	s_waitcnt vmcnt(0)
	v_mad_u64_u32 v[1:2], null, v1, 24, v[9:10]
	v_mad_u64_u32 v[5:6], null, v5, 24, v[2:3]
	v_mov_b32_e32 v2, v5
	global_load_dwordx2 v[5:6], v[1:2], off glc dlc
	s_waitcnt vmcnt(0)
	global_atomic_cmpswap_x2 v[1:2], v4, v[5:8], s[6:7] offset:24 glc
	s_waitcnt vmcnt(0)
	buffer_gl1_inv
	buffer_gl0_inv
	v_cmp_eq_u64_e32 vcc_lo, v[1:2], v[7:8]
	s_or_b32 s10, vcc_lo, s10
	s_andn2_b32 exec_lo, exec_lo, s10
	s_cbranch_execnz .LBB5_14
; %bb.15:
	s_or_b32 exec_lo, exec_lo, s10
.LBB5_16:
	s_or_b32 exec_lo, exec_lo, s9
.LBB5_17:
	s_or_b32 exec_lo, exec_lo, s8
	v_mov_b32_e32 v9, 0
	v_readfirstlane_b32 s9, v2
	v_readfirstlane_b32 s8, v1
	s_mov_b32 s12, exec_lo
	s_waitcnt lgkmcnt(0)
	s_clause 0x1
	global_load_dwordx2 v[10:11], v9, s[6:7] offset:40
	global_load_dwordx4 v[4:7], v9, s[6:7]
	s_waitcnt vmcnt(1)
	v_readfirstlane_b32 s10, v10
	v_readfirstlane_b32 s11, v11
	s_and_b64 s[10:11], s[10:11], s[8:9]
	s_mul_i32 s13, s11, 24
	s_mul_hi_u32 s14, s10, 24
	s_mul_i32 s15, s10, 24
	s_add_i32 s14, s14, s13
	s_waitcnt vmcnt(0)
	v_add_co_u32 v1, vcc_lo, v4, s15
	v_add_co_ci_u32_e64 v2, null, s14, v5, vcc_lo
	s_and_saveexec_b32 s13, s5
	s_cbranch_execz .LBB5_19
; %bb.18:
	v_mov_b32_e32 v8, s12
	v_mov_b32_e32 v10, 2
	;; [unrolled: 1-line block ×3, first 2 shown]
	global_store_dwordx4 v[1:2], v[8:11], off offset:8
.LBB5_19:
	s_or_b32 exec_lo, exec_lo, s13
	s_lshl_b64 s[10:11], s[10:11], 12
	v_lshlrev_b32_e32 v32, 6, v33
	v_add_co_u32 v6, vcc_lo, v6, s10
	v_add_co_ci_u32_e64 v7, null, s11, v7, vcc_lo
	s_mov_b32 s12, 0
	v_add_co_u32 v12, vcc_lo, v6, v32
	s_mov_b32 s15, s12
	s_mov_b32 s13, s12
	;; [unrolled: 1-line block ×3, first 2 shown]
	v_mov_b32_e32 v8, 33
	v_mov_b32_e32 v10, v9
	;; [unrolled: 1-line block ×3, first 2 shown]
	v_readfirstlane_b32 s10, v6
	v_readfirstlane_b32 s11, v7
	v_mov_b32_e32 v17, s15
	v_add_co_ci_u32_e64 v13, null, 0, v7, vcc_lo
	v_mov_b32_e32 v16, s14
	v_mov_b32_e32 v15, s13
	;; [unrolled: 1-line block ×3, first 2 shown]
	global_store_dwordx4 v32, v[8:11], s[10:11]
	global_store_dwordx4 v32, v[14:17], s[10:11] offset:16
	global_store_dwordx4 v32, v[14:17], s[10:11] offset:32
	;; [unrolled: 1-line block ×3, first 2 shown]
	s_and_saveexec_b32 s10, s5
	s_cbranch_execz .LBB5_26
; %bb.20:
	v_mov_b32_e32 v10, 0
	v_mov_b32_e32 v14, s8
	;; [unrolled: 1-line block ×3, first 2 shown]
	s_mov_b32 s11, exec_lo
	s_clause 0x1
	global_load_dwordx2 v[16:17], v10, s[6:7] offset:32 glc dlc
	global_load_dwordx2 v[6:7], v10, s[6:7] offset:40
	s_waitcnt vmcnt(0)
	v_and_b32_e32 v7, s9, v7
	v_and_b32_e32 v6, s8, v6
	v_mul_lo_u32 v7, v7, 24
	v_mul_hi_u32 v8, v6, 24
	v_mul_lo_u32 v6, v6, 24
	v_add_nc_u32_e32 v7, v8, v7
	v_add_co_u32 v8, vcc_lo, v4, v6
	v_add_co_ci_u32_e64 v9, null, v5, v7, vcc_lo
	global_store_dwordx2 v[8:9], v[16:17], off
	s_waitcnt_vscnt null, 0x0
	global_atomic_cmpswap_x2 v[6:7], v10, v[14:17], s[6:7] offset:32 glc
	s_waitcnt vmcnt(0)
	v_cmpx_ne_u64_e64 v[6:7], v[16:17]
	s_cbranch_execz .LBB5_22
.LBB5_21:                               ; =>This Inner Loop Header: Depth=1
	v_mov_b32_e32 v4, s8
	v_mov_b32_e32 v5, s9
	s_sleep 1
	global_store_dwordx2 v[8:9], v[6:7], off
	s_waitcnt_vscnt null, 0x0
	global_atomic_cmpswap_x2 v[4:5], v10, v[4:7], s[6:7] offset:32 glc
	s_waitcnt vmcnt(0)
	v_cmp_eq_u64_e32 vcc_lo, v[4:5], v[6:7]
	v_mov_b32_e32 v7, v5
	v_mov_b32_e32 v6, v4
	s_or_b32 s12, vcc_lo, s12
	s_andn2_b32 exec_lo, exec_lo, s12
	s_cbranch_execnz .LBB5_21
.LBB5_22:
	s_or_b32 exec_lo, exec_lo, s11
	v_mov_b32_e32 v7, 0
	s_mov_b32 s12, exec_lo
	s_mov_b32 s11, exec_lo
	v_mbcnt_lo_u32_b32 v6, s12, 0
	global_load_dwordx2 v[4:5], v7, s[6:7] offset:16
	v_cmpx_eq_u32_e32 0, v6
	s_cbranch_execz .LBB5_24
; %bb.23:
	s_bcnt1_i32_b32 s12, s12
	v_mov_b32_e32 v6, s12
	s_waitcnt vmcnt(0)
	global_atomic_add_x2 v[4:5], v[6:7], off offset:8
.LBB5_24:
	s_or_b32 exec_lo, exec_lo, s11
	s_waitcnt vmcnt(0)
	global_load_dwordx2 v[6:7], v[4:5], off offset:16
	s_waitcnt vmcnt(0)
	v_cmp_eq_u64_e32 vcc_lo, 0, v[6:7]
	s_cbranch_vccnz .LBB5_26
; %bb.25:
	global_load_dword v4, v[4:5], off offset:24
	v_mov_b32_e32 v5, 0
	s_waitcnt vmcnt(0)
	v_readfirstlane_b32 s11, v4
	s_waitcnt_vscnt null, 0x0
	global_store_dwordx2 v[6:7], v[4:5], off
	s_and_b32 m0, s11, 0x7fffff
	s_sendmsg sendmsg(MSG_INTERRUPT)
.LBB5_26:
	s_or_b32 exec_lo, exec_lo, s10
	s_branch .LBB5_30
	.p2align	6
.LBB5_27:                               ;   in Loop: Header=BB5_30 Depth=1
	s_or_b32 exec_lo, exec_lo, s10
	v_readfirstlane_b32 s10, v4
	s_cmp_eq_u32 s10, 0
	s_cbranch_scc1 .LBB5_29
; %bb.28:                               ;   in Loop: Header=BB5_30 Depth=1
	s_sleep 1
	s_cbranch_execnz .LBB5_30
	s_branch .LBB5_32
	.p2align	6
.LBB5_29:
	s_branch .LBB5_32
.LBB5_30:                               ; =>This Inner Loop Header: Depth=1
	v_mov_b32_e32 v4, 1
	s_and_saveexec_b32 s10, s5
	s_cbranch_execz .LBB5_27
; %bb.31:                               ;   in Loop: Header=BB5_30 Depth=1
	global_load_dword v4, v[1:2], off offset:20 glc dlc
	s_waitcnt vmcnt(0)
	buffer_gl1_inv
	buffer_gl0_inv
	v_and_b32_e32 v4, 1, v4
	s_branch .LBB5_27
.LBB5_32:
	global_load_dwordx2 v[4:5], v[12:13], off
	s_and_saveexec_b32 s10, s5
	s_cbranch_execz .LBB5_36
; %bb.33:
	v_mov_b32_e32 v10, 0
	s_clause 0x2
	global_load_dwordx2 v[1:2], v10, s[6:7] offset:40
	global_load_dwordx2 v[13:14], v10, s[6:7] offset:24 glc dlc
	global_load_dwordx2 v[6:7], v10, s[6:7]
	s_waitcnt vmcnt(2)
	v_readfirstlane_b32 s12, v1
	v_readfirstlane_b32 s13, v2
	s_add_u32 s5, s12, 1
	s_addc_u32 s11, s13, 0
	s_add_u32 s8, s5, s8
	s_addc_u32 s9, s11, s9
	s_cmp_eq_u64 s[8:9], 0
	s_cselect_b32 s9, s11, s9
	s_cselect_b32 s8, s5, s8
	v_mov_b32_e32 v12, s9
	s_and_b64 s[12:13], s[8:9], s[12:13]
	v_mov_b32_e32 v11, s8
	s_mul_i32 s5, s13, 24
	s_mul_hi_u32 s11, s12, 24
	s_mul_i32 s12, s12, 24
	s_add_i32 s11, s11, s5
	s_waitcnt vmcnt(0)
	v_add_co_u32 v1, vcc_lo, v6, s12
	v_add_co_ci_u32_e64 v2, null, s11, v7, vcc_lo
	global_store_dwordx2 v[1:2], v[13:14], off
	s_waitcnt_vscnt null, 0x0
	global_atomic_cmpswap_x2 v[8:9], v10, v[11:14], s[6:7] offset:24 glc
	s_waitcnt vmcnt(0)
	v_cmp_ne_u64_e32 vcc_lo, v[8:9], v[13:14]
	s_and_b32 exec_lo, exec_lo, vcc_lo
	s_cbranch_execz .LBB5_36
; %bb.34:
	s_mov_b32 s5, 0
.LBB5_35:                               ; =>This Inner Loop Header: Depth=1
	v_mov_b32_e32 v6, s8
	v_mov_b32_e32 v7, s9
	s_sleep 1
	global_store_dwordx2 v[1:2], v[8:9], off
	s_waitcnt_vscnt null, 0x0
	global_atomic_cmpswap_x2 v[6:7], v10, v[6:9], s[6:7] offset:24 glc
	s_waitcnt vmcnt(0)
	v_cmp_eq_u64_e32 vcc_lo, v[6:7], v[8:9]
	v_mov_b32_e32 v9, v7
	v_mov_b32_e32 v8, v6
	s_or_b32 s5, vcc_lo, s5
	s_andn2_b32 exec_lo, exec_lo, s5
	s_cbranch_execnz .LBB5_35
.LBB5_36:
	s_or_b32 exec_lo, exec_lo, s10
	s_getpc_b64 s[8:9]
	s_add_u32 s8, s8, .str.45@rel32@lo+4
	s_addc_u32 s9, s9, .str.45@rel32@hi+12
	s_cmp_lg_u64 s[8:9], 0
	s_cbranch_scc0 .LBB5_115
; %bb.37:
	s_waitcnt vmcnt(0)
	v_and_b32_e32 v35, 2, v4
	v_mov_b32_e32 v11, 0
	v_and_b32_e32 v6, -3, v4
	v_mov_b32_e32 v7, v5
	v_mov_b32_e32 v12, 2
	v_mov_b32_e32 v13, 1
	s_mov_b64 s[10:11], 7
	s_branch .LBB5_39
.LBB5_38:                               ;   in Loop: Header=BB5_39 Depth=1
	s_or_b32 exec_lo, exec_lo, s16
	s_sub_u32 s10, s10, s12
	s_subb_u32 s11, s11, s13
	s_add_u32 s8, s8, s12
	s_addc_u32 s9, s9, s13
	s_cmp_lg_u64 s[10:11], 0
	s_cbranch_scc0 .LBB5_114
.LBB5_39:                               ; =>This Loop Header: Depth=1
                                        ;     Child Loop BB5_42 Depth 2
                                        ;     Child Loop BB5_49 Depth 2
	;; [unrolled: 1-line block ×11, first 2 shown]
	v_cmp_lt_u64_e64 s5, s[10:11], 56
	v_cmp_gt_u64_e64 s16, s[10:11], 7
	s_and_b32 s5, s5, exec_lo
	s_cselect_b32 s13, s11, 0
	s_cselect_b32 s12, s10, 56
	s_add_u32 s14, s8, 8
	s_addc_u32 s15, s9, 0
	s_and_b32 vcc_lo, exec_lo, s16
	s_cbranch_vccnz .LBB5_44
; %bb.40:                               ;   in Loop: Header=BB5_39 Depth=1
	v_mov_b32_e32 v8, 0
	v_mov_b32_e32 v9, 0
	s_cmp_eq_u64 s[10:11], 0
	s_cbranch_scc1 .LBB5_43
; %bb.41:                               ;   in Loop: Header=BB5_39 Depth=1
	s_lshl_b64 s[14:15], s[12:13], 3
	s_mov_b64 s[16:17], 0
	s_mov_b64 s[18:19], s[8:9]
.LBB5_42:                               ;   Parent Loop BB5_39 Depth=1
                                        ; =>  This Inner Loop Header: Depth=2
	global_load_ubyte v1, v11, s[18:19]
	s_waitcnt vmcnt(0)
	v_and_b32_e32 v10, 0xffff, v1
	v_lshlrev_b64 v[1:2], s16, v[10:11]
	s_add_u32 s16, s16, 8
	s_addc_u32 s17, s17, 0
	s_add_u32 s18, s18, 1
	s_addc_u32 s19, s19, 0
	s_cmp_lg_u32 s14, s16
	v_or_b32_e32 v8, v1, v8
	v_or_b32_e32 v9, v2, v9
	s_cbranch_scc1 .LBB5_42
.LBB5_43:                               ;   in Loop: Header=BB5_39 Depth=1
	s_mov_b64 s[14:15], s[8:9]
	s_mov_b32 s5, 0
	s_cbranch_execz .LBB5_45
	s_branch .LBB5_46
.LBB5_44:                               ;   in Loop: Header=BB5_39 Depth=1
	s_mov_b32 s5, 0
.LBB5_45:                               ;   in Loop: Header=BB5_39 Depth=1
	global_load_dwordx2 v[8:9], v11, s[8:9]
	s_add_i32 s5, s12, -8
.LBB5_46:                               ;   in Loop: Header=BB5_39 Depth=1
	s_add_u32 s16, s14, 8
	s_addc_u32 s17, s15, 0
	s_cmp_gt_u32 s5, 7
	s_cbranch_scc1 .LBB5_51
; %bb.47:                               ;   in Loop: Header=BB5_39 Depth=1
	v_mov_b32_e32 v14, 0
	v_mov_b32_e32 v15, 0
	s_cmp_eq_u32 s5, 0
	s_cbranch_scc1 .LBB5_50
; %bb.48:                               ;   in Loop: Header=BB5_39 Depth=1
	s_mov_b64 s[16:17], 0
	s_mov_b64 s[18:19], 0
.LBB5_49:                               ;   Parent Loop BB5_39 Depth=1
                                        ; =>  This Inner Loop Header: Depth=2
	s_add_u32 s24, s14, s18
	s_addc_u32 s25, s15, s19
	s_add_u32 s18, s18, 1
	global_load_ubyte v1, v11, s[24:25]
	s_addc_u32 s19, s19, 0
	s_waitcnt vmcnt(0)
	v_and_b32_e32 v10, 0xffff, v1
	v_lshlrev_b64 v[1:2], s16, v[10:11]
	s_add_u32 s16, s16, 8
	s_addc_u32 s17, s17, 0
	s_cmp_lg_u32 s5, s18
	v_or_b32_e32 v14, v1, v14
	v_or_b32_e32 v15, v2, v15
	s_cbranch_scc1 .LBB5_49
.LBB5_50:                               ;   in Loop: Header=BB5_39 Depth=1
	s_mov_b64 s[16:17], s[14:15]
	s_mov_b32 s23, 0
	s_cbranch_execz .LBB5_52
	s_branch .LBB5_53
.LBB5_51:                               ;   in Loop: Header=BB5_39 Depth=1
                                        ; implicit-def: $vgpr14_vgpr15
	s_mov_b32 s23, 0
.LBB5_52:                               ;   in Loop: Header=BB5_39 Depth=1
	global_load_dwordx2 v[14:15], v11, s[14:15]
	s_add_i32 s23, s5, -8
.LBB5_53:                               ;   in Loop: Header=BB5_39 Depth=1
	s_add_u32 s14, s16, 8
	s_addc_u32 s15, s17, 0
	s_cmp_gt_u32 s23, 7
	s_cbranch_scc1 .LBB5_58
; %bb.54:                               ;   in Loop: Header=BB5_39 Depth=1
	v_mov_b32_e32 v16, 0
	v_mov_b32_e32 v17, 0
	s_cmp_eq_u32 s23, 0
	s_cbranch_scc1 .LBB5_57
; %bb.55:                               ;   in Loop: Header=BB5_39 Depth=1
	s_mov_b64 s[14:15], 0
	s_mov_b64 s[18:19], 0
.LBB5_56:                               ;   Parent Loop BB5_39 Depth=1
                                        ; =>  This Inner Loop Header: Depth=2
	s_add_u32 s24, s16, s18
	s_addc_u32 s25, s17, s19
	s_add_u32 s18, s18, 1
	global_load_ubyte v1, v11, s[24:25]
	s_addc_u32 s19, s19, 0
	s_waitcnt vmcnt(0)
	v_and_b32_e32 v10, 0xffff, v1
	v_lshlrev_b64 v[1:2], s14, v[10:11]
	s_add_u32 s14, s14, 8
	s_addc_u32 s15, s15, 0
	s_cmp_lg_u32 s23, s18
	v_or_b32_e32 v16, v1, v16
	v_or_b32_e32 v17, v2, v17
	s_cbranch_scc1 .LBB5_56
.LBB5_57:                               ;   in Loop: Header=BB5_39 Depth=1
	s_mov_b64 s[14:15], s[16:17]
	s_mov_b32 s5, 0
	s_cbranch_execz .LBB5_59
	s_branch .LBB5_60
.LBB5_58:                               ;   in Loop: Header=BB5_39 Depth=1
	s_mov_b32 s5, 0
.LBB5_59:                               ;   in Loop: Header=BB5_39 Depth=1
	global_load_dwordx2 v[16:17], v11, s[16:17]
	s_add_i32 s5, s23, -8
.LBB5_60:                               ;   in Loop: Header=BB5_39 Depth=1
	s_add_u32 s16, s14, 8
	s_addc_u32 s17, s15, 0
	s_cmp_gt_u32 s5, 7
	s_cbranch_scc1 .LBB5_65
; %bb.61:                               ;   in Loop: Header=BB5_39 Depth=1
	v_mov_b32_e32 v18, 0
	v_mov_b32_e32 v19, 0
	s_cmp_eq_u32 s5, 0
	s_cbranch_scc1 .LBB5_64
; %bb.62:                               ;   in Loop: Header=BB5_39 Depth=1
	s_mov_b64 s[16:17], 0
	s_mov_b64 s[18:19], 0
.LBB5_63:                               ;   Parent Loop BB5_39 Depth=1
                                        ; =>  This Inner Loop Header: Depth=2
	s_add_u32 s24, s14, s18
	s_addc_u32 s25, s15, s19
	s_add_u32 s18, s18, 1
	global_load_ubyte v1, v11, s[24:25]
	s_addc_u32 s19, s19, 0
	s_waitcnt vmcnt(0)
	v_and_b32_e32 v10, 0xffff, v1
	v_lshlrev_b64 v[1:2], s16, v[10:11]
	s_add_u32 s16, s16, 8
	s_addc_u32 s17, s17, 0
	s_cmp_lg_u32 s5, s18
	v_or_b32_e32 v18, v1, v18
	v_or_b32_e32 v19, v2, v19
	s_cbranch_scc1 .LBB5_63
.LBB5_64:                               ;   in Loop: Header=BB5_39 Depth=1
	s_mov_b64 s[16:17], s[14:15]
	s_mov_b32 s23, 0
	s_cbranch_execz .LBB5_66
	s_branch .LBB5_67
.LBB5_65:                               ;   in Loop: Header=BB5_39 Depth=1
                                        ; implicit-def: $vgpr18_vgpr19
	s_mov_b32 s23, 0
.LBB5_66:                               ;   in Loop: Header=BB5_39 Depth=1
	global_load_dwordx2 v[18:19], v11, s[14:15]
	s_add_i32 s23, s5, -8
.LBB5_67:                               ;   in Loop: Header=BB5_39 Depth=1
	s_add_u32 s14, s16, 8
	s_addc_u32 s15, s17, 0
	s_cmp_gt_u32 s23, 7
	s_cbranch_scc1 .LBB5_72
; %bb.68:                               ;   in Loop: Header=BB5_39 Depth=1
	v_mov_b32_e32 v20, 0
	v_mov_b32_e32 v21, 0
	s_cmp_eq_u32 s23, 0
	s_cbranch_scc1 .LBB5_71
; %bb.69:                               ;   in Loop: Header=BB5_39 Depth=1
	s_mov_b64 s[14:15], 0
	s_mov_b64 s[18:19], 0
.LBB5_70:                               ;   Parent Loop BB5_39 Depth=1
                                        ; =>  This Inner Loop Header: Depth=2
	s_add_u32 s24, s16, s18
	s_addc_u32 s25, s17, s19
	s_add_u32 s18, s18, 1
	global_load_ubyte v1, v11, s[24:25]
	s_addc_u32 s19, s19, 0
	s_waitcnt vmcnt(0)
	v_and_b32_e32 v10, 0xffff, v1
	v_lshlrev_b64 v[1:2], s14, v[10:11]
	s_add_u32 s14, s14, 8
	s_addc_u32 s15, s15, 0
	s_cmp_lg_u32 s23, s18
	v_or_b32_e32 v20, v1, v20
	v_or_b32_e32 v21, v2, v21
	s_cbranch_scc1 .LBB5_70
.LBB5_71:                               ;   in Loop: Header=BB5_39 Depth=1
	s_mov_b64 s[14:15], s[16:17]
	s_mov_b32 s5, 0
	s_cbranch_execz .LBB5_73
	s_branch .LBB5_74
.LBB5_72:                               ;   in Loop: Header=BB5_39 Depth=1
	s_mov_b32 s5, 0
.LBB5_73:                               ;   in Loop: Header=BB5_39 Depth=1
	global_load_dwordx2 v[20:21], v11, s[16:17]
	s_add_i32 s5, s23, -8
.LBB5_74:                               ;   in Loop: Header=BB5_39 Depth=1
	s_add_u32 s16, s14, 8
	s_addc_u32 s17, s15, 0
	s_cmp_gt_u32 s5, 7
	s_cbranch_scc1 .LBB5_79
; %bb.75:                               ;   in Loop: Header=BB5_39 Depth=1
	v_mov_b32_e32 v22, 0
	v_mov_b32_e32 v23, 0
	s_cmp_eq_u32 s5, 0
	s_cbranch_scc1 .LBB5_78
; %bb.76:                               ;   in Loop: Header=BB5_39 Depth=1
	s_mov_b64 s[16:17], 0
	s_mov_b64 s[18:19], 0
.LBB5_77:                               ;   Parent Loop BB5_39 Depth=1
                                        ; =>  This Inner Loop Header: Depth=2
	s_add_u32 s24, s14, s18
	s_addc_u32 s25, s15, s19
	s_add_u32 s18, s18, 1
	global_load_ubyte v1, v11, s[24:25]
	s_addc_u32 s19, s19, 0
	s_waitcnt vmcnt(0)
	v_and_b32_e32 v10, 0xffff, v1
	v_lshlrev_b64 v[1:2], s16, v[10:11]
	s_add_u32 s16, s16, 8
	s_addc_u32 s17, s17, 0
	s_cmp_lg_u32 s5, s18
	v_or_b32_e32 v22, v1, v22
	v_or_b32_e32 v23, v2, v23
	s_cbranch_scc1 .LBB5_77
.LBB5_78:                               ;   in Loop: Header=BB5_39 Depth=1
	s_mov_b64 s[16:17], s[14:15]
	s_mov_b32 s23, 0
	s_cbranch_execz .LBB5_80
	s_branch .LBB5_81
.LBB5_79:                               ;   in Loop: Header=BB5_39 Depth=1
                                        ; implicit-def: $vgpr22_vgpr23
	s_mov_b32 s23, 0
.LBB5_80:                               ;   in Loop: Header=BB5_39 Depth=1
	global_load_dwordx2 v[22:23], v11, s[14:15]
	s_add_i32 s23, s5, -8
.LBB5_81:                               ;   in Loop: Header=BB5_39 Depth=1
	s_cmp_gt_u32 s23, 7
	s_cbranch_scc1 .LBB5_86
; %bb.82:                               ;   in Loop: Header=BB5_39 Depth=1
	v_mov_b32_e32 v24, 0
	v_mov_b32_e32 v25, 0
	s_cmp_eq_u32 s23, 0
	s_cbranch_scc1 .LBB5_85
; %bb.83:                               ;   in Loop: Header=BB5_39 Depth=1
	s_mov_b64 s[14:15], 0
	s_mov_b64 s[18:19], s[16:17]
.LBB5_84:                               ;   Parent Loop BB5_39 Depth=1
                                        ; =>  This Inner Loop Header: Depth=2
	global_load_ubyte v1, v11, s[18:19]
	s_add_i32 s23, s23, -1
	s_waitcnt vmcnt(0)
	v_and_b32_e32 v10, 0xffff, v1
	v_lshlrev_b64 v[1:2], s14, v[10:11]
	s_add_u32 s14, s14, 8
	s_addc_u32 s15, s15, 0
	s_add_u32 s18, s18, 1
	s_addc_u32 s19, s19, 0
	s_cmp_lg_u32 s23, 0
	v_or_b32_e32 v24, v1, v24
	v_or_b32_e32 v25, v2, v25
	s_cbranch_scc1 .LBB5_84
.LBB5_85:                               ;   in Loop: Header=BB5_39 Depth=1
	s_cbranch_execz .LBB5_87
	s_branch .LBB5_88
.LBB5_86:                               ;   in Loop: Header=BB5_39 Depth=1
.LBB5_87:                               ;   in Loop: Header=BB5_39 Depth=1
	global_load_dwordx2 v[24:25], v11, s[16:17]
.LBB5_88:                               ;   in Loop: Header=BB5_39 Depth=1
	v_readfirstlane_b32 s5, v33
	v_mov_b32_e32 v1, 0
	v_mov_b32_e32 v2, 0
	v_cmp_eq_u32_e64 s5, s5, v33
	s_and_saveexec_b32 s14, s5
	s_cbranch_execz .LBB5_94
; %bb.89:                               ;   in Loop: Header=BB5_39 Depth=1
	global_load_dwordx2 v[28:29], v11, s[6:7] offset:24 glc dlc
	s_waitcnt vmcnt(0)
	buffer_gl1_inv
	buffer_gl0_inv
	s_clause 0x1
	global_load_dwordx2 v[1:2], v11, s[6:7] offset:40
	global_load_dwordx2 v[26:27], v11, s[6:7]
	s_mov_b32 s15, exec_lo
	s_waitcnt vmcnt(1)
	v_and_b32_e32 v2, v2, v29
	v_and_b32_e32 v1, v1, v28
	v_mul_lo_u32 v2, v2, 24
	v_mul_hi_u32 v10, v1, 24
	v_mul_lo_u32 v1, v1, 24
	v_add_nc_u32_e32 v2, v10, v2
	s_waitcnt vmcnt(0)
	v_add_co_u32 v1, vcc_lo, v26, v1
	v_add_co_ci_u32_e64 v2, null, v27, v2, vcc_lo
	global_load_dwordx2 v[26:27], v[1:2], off glc dlc
	s_waitcnt vmcnt(0)
	global_atomic_cmpswap_x2 v[1:2], v11, v[26:29], s[6:7] offset:24 glc
	s_waitcnt vmcnt(0)
	buffer_gl1_inv
	buffer_gl0_inv
	v_cmpx_ne_u64_e64 v[1:2], v[28:29]
	s_cbranch_execz .LBB5_93
; %bb.90:                               ;   in Loop: Header=BB5_39 Depth=1
	s_mov_b32 s16, 0
	.p2align	6
.LBB5_91:                               ;   Parent Loop BB5_39 Depth=1
                                        ; =>  This Inner Loop Header: Depth=2
	s_sleep 1
	s_clause 0x1
	global_load_dwordx2 v[26:27], v11, s[6:7] offset:40
	global_load_dwordx2 v[36:37], v11, s[6:7]
	v_mov_b32_e32 v29, v2
	v_mov_b32_e32 v28, v1
	s_waitcnt vmcnt(1)
	v_and_b32_e32 v1, v26, v28
	v_and_b32_e32 v10, v27, v29
	s_waitcnt vmcnt(0)
	v_mad_u64_u32 v[1:2], null, v1, 24, v[36:37]
	v_mad_u64_u32 v[26:27], null, v10, 24, v[2:3]
	v_mov_b32_e32 v2, v26
	global_load_dwordx2 v[26:27], v[1:2], off glc dlc
	s_waitcnt vmcnt(0)
	global_atomic_cmpswap_x2 v[1:2], v11, v[26:29], s[6:7] offset:24 glc
	s_waitcnt vmcnt(0)
	buffer_gl1_inv
	buffer_gl0_inv
	v_cmp_eq_u64_e32 vcc_lo, v[1:2], v[28:29]
	s_or_b32 s16, vcc_lo, s16
	s_andn2_b32 exec_lo, exec_lo, s16
	s_cbranch_execnz .LBB5_91
; %bb.92:                               ;   in Loop: Header=BB5_39 Depth=1
	s_or_b32 exec_lo, exec_lo, s16
.LBB5_93:                               ;   in Loop: Header=BB5_39 Depth=1
	s_or_b32 exec_lo, exec_lo, s15
.LBB5_94:                               ;   in Loop: Header=BB5_39 Depth=1
	s_or_b32 exec_lo, exec_lo, s14
	s_clause 0x1
	global_load_dwordx2 v[36:37], v11, s[6:7] offset:40
	global_load_dwordx4 v[26:29], v11, s[6:7]
	v_readfirstlane_b32 s15, v2
	v_readfirstlane_b32 s14, v1
	s_mov_b32 s18, exec_lo
	s_waitcnt vmcnt(1)
	v_readfirstlane_b32 s16, v36
	v_readfirstlane_b32 s17, v37
	s_and_b64 s[16:17], s[16:17], s[14:15]
	s_mul_i32 s19, s17, 24
	s_mul_hi_u32 s23, s16, 24
	s_mul_i32 s24, s16, 24
	s_add_i32 s23, s23, s19
	s_waitcnt vmcnt(0)
	v_add_co_u32 v1, vcc_lo, v26, s24
	v_add_co_ci_u32_e64 v2, null, s23, v27, vcc_lo
	s_and_saveexec_b32 s19, s5
	s_cbranch_execz .LBB5_96
; %bb.95:                               ;   in Loop: Header=BB5_39 Depth=1
	v_mov_b32_e32 v10, s18
	global_store_dwordx4 v[1:2], v[10:13], off offset:8
.LBB5_96:                               ;   in Loop: Header=BB5_39 Depth=1
	s_or_b32 exec_lo, exec_lo, s19
	v_cmp_lt_u64_e64 vcc_lo, s[10:11], 57
	s_lshl_b64 s[16:17], s[16:17], 12
	v_and_b32_e32 v6, 0xffffff1f, v6
	v_cndmask_b32_e32 v10, 0, v35, vcc_lo
	v_add_co_u32 v28, vcc_lo, v28, s16
	v_add_co_ci_u32_e64 v29, null, s17, v29, vcc_lo
	v_or_b32_e32 v6, v6, v10
	s_lshl_b32 s16, s12, 2
	s_add_i32 s18, s16, 28
	v_readfirstlane_b32 s16, v28
	v_readfirstlane_b32 s17, v29
	v_and_or_b32 v6, 0x1e0, s18, v6
	global_store_dwordx4 v32, v[14:17], s[16:17] offset:16
	global_store_dwordx4 v32, v[6:9], s[16:17]
	global_store_dwordx4 v32, v[18:21], s[16:17] offset:32
	global_store_dwordx4 v32, v[22:25], s[16:17] offset:48
	s_and_saveexec_b32 s16, s5
	s_cbranch_execz .LBB5_104
; %bb.97:                               ;   in Loop: Header=BB5_39 Depth=1
	s_clause 0x1
	global_load_dwordx2 v[18:19], v11, s[6:7] offset:32 glc dlc
	global_load_dwordx2 v[6:7], v11, s[6:7] offset:40
	v_mov_b32_e32 v16, s14
	v_mov_b32_e32 v17, s15
	s_waitcnt vmcnt(0)
	v_readfirstlane_b32 s18, v6
	v_readfirstlane_b32 s19, v7
	s_and_b64 s[18:19], s[18:19], s[14:15]
	s_mul_i32 s17, s19, 24
	s_mul_hi_u32 s19, s18, 24
	s_mul_i32 s18, s18, 24
	s_add_i32 s19, s19, s17
	v_add_co_u32 v14, vcc_lo, v26, s18
	v_add_co_ci_u32_e64 v15, null, s19, v27, vcc_lo
	s_mov_b32 s17, exec_lo
	global_store_dwordx2 v[14:15], v[18:19], off
	s_waitcnt_vscnt null, 0x0
	global_atomic_cmpswap_x2 v[8:9], v11, v[16:19], s[6:7] offset:32 glc
	s_waitcnt vmcnt(0)
	v_cmpx_ne_u64_e64 v[8:9], v[18:19]
	s_cbranch_execz .LBB5_100
; %bb.98:                               ;   in Loop: Header=BB5_39 Depth=1
	s_mov_b32 s18, 0
.LBB5_99:                               ;   Parent Loop BB5_39 Depth=1
                                        ; =>  This Inner Loop Header: Depth=2
	v_mov_b32_e32 v6, s14
	v_mov_b32_e32 v7, s15
	s_sleep 1
	global_store_dwordx2 v[14:15], v[8:9], off
	s_waitcnt_vscnt null, 0x0
	global_atomic_cmpswap_x2 v[6:7], v11, v[6:9], s[6:7] offset:32 glc
	s_waitcnt vmcnt(0)
	v_cmp_eq_u64_e32 vcc_lo, v[6:7], v[8:9]
	v_mov_b32_e32 v9, v7
	v_mov_b32_e32 v8, v6
	s_or_b32 s18, vcc_lo, s18
	s_andn2_b32 exec_lo, exec_lo, s18
	s_cbranch_execnz .LBB5_99
.LBB5_100:                              ;   in Loop: Header=BB5_39 Depth=1
	s_or_b32 exec_lo, exec_lo, s17
	global_load_dwordx2 v[6:7], v11, s[6:7] offset:16
	s_mov_b32 s18, exec_lo
	s_mov_b32 s17, exec_lo
	v_mbcnt_lo_u32_b32 v8, s18, 0
	v_cmpx_eq_u32_e32 0, v8
	s_cbranch_execz .LBB5_102
; %bb.101:                              ;   in Loop: Header=BB5_39 Depth=1
	s_bcnt1_i32_b32 s18, s18
	v_mov_b32_e32 v10, s18
	s_waitcnt vmcnt(0)
	global_atomic_add_x2 v[6:7], v[10:11], off offset:8
.LBB5_102:                              ;   in Loop: Header=BB5_39 Depth=1
	s_or_b32 exec_lo, exec_lo, s17
	s_waitcnt vmcnt(0)
	global_load_dwordx2 v[8:9], v[6:7], off offset:16
	s_waitcnt vmcnt(0)
	v_cmp_eq_u64_e32 vcc_lo, 0, v[8:9]
	s_cbranch_vccnz .LBB5_104
; %bb.103:                              ;   in Loop: Header=BB5_39 Depth=1
	global_load_dword v10, v[6:7], off offset:24
	s_waitcnt vmcnt(0)
	v_readfirstlane_b32 s17, v10
	s_waitcnt_vscnt null, 0x0
	global_store_dwordx2 v[8:9], v[10:11], off
	s_and_b32 m0, s17, 0x7fffff
	s_sendmsg sendmsg(MSG_INTERRUPT)
.LBB5_104:                              ;   in Loop: Header=BB5_39 Depth=1
	s_or_b32 exec_lo, exec_lo, s16
	v_add_co_u32 v6, vcc_lo, v28, v32
	v_add_co_ci_u32_e64 v7, null, 0, v29, vcc_lo
	s_branch .LBB5_108
	.p2align	6
.LBB5_105:                              ;   in Loop: Header=BB5_108 Depth=2
	s_or_b32 exec_lo, exec_lo, s16
	v_readfirstlane_b32 s16, v8
	s_cmp_eq_u32 s16, 0
	s_cbranch_scc1 .LBB5_107
; %bb.106:                              ;   in Loop: Header=BB5_108 Depth=2
	s_sleep 1
	s_cbranch_execnz .LBB5_108
	s_branch .LBB5_110
	.p2align	6
.LBB5_107:                              ;   in Loop: Header=BB5_39 Depth=1
	s_branch .LBB5_110
.LBB5_108:                              ;   Parent Loop BB5_39 Depth=1
                                        ; =>  This Inner Loop Header: Depth=2
	v_mov_b32_e32 v8, 1
	s_and_saveexec_b32 s16, s5
	s_cbranch_execz .LBB5_105
; %bb.109:                              ;   in Loop: Header=BB5_108 Depth=2
	global_load_dword v8, v[1:2], off offset:20 glc dlc
	s_waitcnt vmcnt(0)
	buffer_gl1_inv
	buffer_gl0_inv
	v_and_b32_e32 v8, 1, v8
	s_branch .LBB5_105
.LBB5_110:                              ;   in Loop: Header=BB5_39 Depth=1
	global_load_dwordx2 v[6:7], v[6:7], off
	s_and_saveexec_b32 s16, s5
	s_cbranch_execz .LBB5_38
; %bb.111:                              ;   in Loop: Header=BB5_39 Depth=1
	s_clause 0x2
	global_load_dwordx2 v[1:2], v11, s[6:7] offset:40
	global_load_dwordx2 v[18:19], v11, s[6:7] offset:24 glc dlc
	global_load_dwordx2 v[8:9], v11, s[6:7]
	s_waitcnt vmcnt(2)
	v_readfirstlane_b32 s18, v1
	v_readfirstlane_b32 s19, v2
	s_add_u32 s5, s18, 1
	s_addc_u32 s17, s19, 0
	s_add_u32 s14, s5, s14
	s_addc_u32 s15, s17, s15
	s_cmp_eq_u64 s[14:15], 0
	s_cselect_b32 s15, s17, s15
	s_cselect_b32 s14, s5, s14
	v_mov_b32_e32 v17, s15
	s_and_b64 s[18:19], s[14:15], s[18:19]
	v_mov_b32_e32 v16, s14
	s_mul_i32 s5, s19, 24
	s_mul_hi_u32 s17, s18, 24
	s_mul_i32 s18, s18, 24
	s_add_i32 s17, s17, s5
	s_waitcnt vmcnt(0)
	v_add_co_u32 v1, vcc_lo, v8, s18
	v_add_co_ci_u32_e64 v2, null, s17, v9, vcc_lo
	global_store_dwordx2 v[1:2], v[18:19], off
	s_waitcnt_vscnt null, 0x0
	global_atomic_cmpswap_x2 v[16:17], v11, v[16:19], s[6:7] offset:24 glc
	s_waitcnt vmcnt(0)
	v_cmp_ne_u64_e32 vcc_lo, v[16:17], v[18:19]
	s_and_b32 exec_lo, exec_lo, vcc_lo
	s_cbranch_execz .LBB5_38
; %bb.112:                              ;   in Loop: Header=BB5_39 Depth=1
	s_mov_b32 s5, 0
.LBB5_113:                              ;   Parent Loop BB5_39 Depth=1
                                        ; =>  This Inner Loop Header: Depth=2
	v_mov_b32_e32 v14, s14
	v_mov_b32_e32 v15, s15
	s_sleep 1
	global_store_dwordx2 v[1:2], v[16:17], off
	s_waitcnt_vscnt null, 0x0
	global_atomic_cmpswap_x2 v[8:9], v11, v[14:17], s[6:7] offset:24 glc
	s_waitcnt vmcnt(0)
	v_cmp_eq_u64_e32 vcc_lo, v[8:9], v[16:17]
	v_mov_b32_e32 v17, v9
	v_mov_b32_e32 v16, v8
	s_or_b32 s5, vcc_lo, s5
	s_andn2_b32 exec_lo, exec_lo, s5
	s_cbranch_execnz .LBB5_113
	s_branch .LBB5_38
.LBB5_114:
	s_branch .LBB5_143
.LBB5_115:
                                        ; implicit-def: $vgpr6_vgpr7
	s_cbranch_execz .LBB5_143
; %bb.116:
	v_readfirstlane_b32 s5, v33
	v_mov_b32_e32 v1, 0
	v_mov_b32_e32 v2, 0
	v_cmp_eq_u32_e64 s5, s5, v33
	s_and_saveexec_b32 s8, s5
	s_cbranch_execz .LBB5_122
; %bb.117:
	s_waitcnt vmcnt(0)
	v_mov_b32_e32 v6, 0
	s_mov_b32 s9, exec_lo
	global_load_dwordx2 v[9:10], v6, s[6:7] offset:24 glc dlc
	s_waitcnt vmcnt(0)
	buffer_gl1_inv
	buffer_gl0_inv
	s_clause 0x1
	global_load_dwordx2 v[1:2], v6, s[6:7] offset:40
	global_load_dwordx2 v[7:8], v6, s[6:7]
	s_waitcnt vmcnt(1)
	v_and_b32_e32 v2, v2, v10
	v_and_b32_e32 v1, v1, v9
	v_mul_lo_u32 v2, v2, 24
	v_mul_hi_u32 v11, v1, 24
	v_mul_lo_u32 v1, v1, 24
	v_add_nc_u32_e32 v2, v11, v2
	s_waitcnt vmcnt(0)
	v_add_co_u32 v1, vcc_lo, v7, v1
	v_add_co_ci_u32_e64 v2, null, v8, v2, vcc_lo
	global_load_dwordx2 v[7:8], v[1:2], off glc dlc
	s_waitcnt vmcnt(0)
	global_atomic_cmpswap_x2 v[1:2], v6, v[7:10], s[6:7] offset:24 glc
	s_waitcnt vmcnt(0)
	buffer_gl1_inv
	buffer_gl0_inv
	v_cmpx_ne_u64_e64 v[1:2], v[9:10]
	s_cbranch_execz .LBB5_121
; %bb.118:
	s_mov_b32 s10, 0
	.p2align	6
.LBB5_119:                              ; =>This Inner Loop Header: Depth=1
	s_sleep 1
	s_clause 0x1
	global_load_dwordx2 v[7:8], v6, s[6:7] offset:40
	global_load_dwordx2 v[11:12], v6, s[6:7]
	v_mov_b32_e32 v10, v2
	v_mov_b32_e32 v9, v1
	s_waitcnt vmcnt(1)
	v_and_b32_e32 v1, v7, v9
	v_and_b32_e32 v7, v8, v10
	s_waitcnt vmcnt(0)
	v_mad_u64_u32 v[1:2], null, v1, 24, v[11:12]
	v_mad_u64_u32 v[7:8], null, v7, 24, v[2:3]
	v_mov_b32_e32 v2, v7
	global_load_dwordx2 v[7:8], v[1:2], off glc dlc
	s_waitcnt vmcnt(0)
	global_atomic_cmpswap_x2 v[1:2], v6, v[7:10], s[6:7] offset:24 glc
	s_waitcnt vmcnt(0)
	buffer_gl1_inv
	buffer_gl0_inv
	v_cmp_eq_u64_e32 vcc_lo, v[1:2], v[9:10]
	s_or_b32 s10, vcc_lo, s10
	s_andn2_b32 exec_lo, exec_lo, s10
	s_cbranch_execnz .LBB5_119
; %bb.120:
	s_or_b32 exec_lo, exec_lo, s10
.LBB5_121:
	s_or_b32 exec_lo, exec_lo, s9
.LBB5_122:
	s_or_b32 exec_lo, exec_lo, s8
	s_waitcnt vmcnt(0)
	v_mov_b32_e32 v6, 0
	v_readfirstlane_b32 s9, v2
	v_readfirstlane_b32 s8, v1
	s_mov_b32 s12, exec_lo
	s_clause 0x1
	global_load_dwordx2 v[12:13], v6, s[6:7] offset:40
	global_load_dwordx4 v[8:11], v6, s[6:7]
	s_waitcnt vmcnt(1)
	v_readfirstlane_b32 s10, v12
	v_readfirstlane_b32 s11, v13
	s_and_b64 s[10:11], s[10:11], s[8:9]
	s_mul_i32 s13, s11, 24
	s_mul_hi_u32 s14, s10, 24
	s_mul_i32 s15, s10, 24
	s_add_i32 s14, s14, s13
	s_waitcnt vmcnt(0)
	v_add_co_u32 v1, vcc_lo, v8, s15
	v_add_co_ci_u32_e64 v2, null, s14, v9, vcc_lo
	s_and_saveexec_b32 s13, s5
	s_cbranch_execz .LBB5_124
; %bb.123:
	v_mov_b32_e32 v12, s12
	v_mov_b32_e32 v13, v6
	;; [unrolled: 1-line block ×4, first 2 shown]
	global_store_dwordx4 v[1:2], v[12:15], off offset:8
.LBB5_124:
	s_or_b32 exec_lo, exec_lo, s13
	s_lshl_b64 s[10:11], s[10:11], 12
	s_mov_b32 s12, 0
	v_add_co_u32 v10, vcc_lo, v10, s10
	v_add_co_ci_u32_e64 v11, null, s11, v11, vcc_lo
	s_mov_b32 s13, s12
	v_readfirstlane_b32 s10, v10
	v_add_co_u32 v10, vcc_lo, v10, v32
	s_mov_b32 s14, s12
	s_mov_b32 s15, s12
	v_and_or_b32 v4, 0xffffff1f, v4, 32
	v_mov_b32_e32 v7, v6
	v_readfirstlane_b32 s11, v11
	v_mov_b32_e32 v12, s12
	v_add_co_ci_u32_e64 v11, null, 0, v11, vcc_lo
	v_mov_b32_e32 v13, s13
	v_mov_b32_e32 v14, s14
	;; [unrolled: 1-line block ×3, first 2 shown]
	global_store_dwordx4 v32, v[4:7], s[10:11]
	global_store_dwordx4 v32, v[12:15], s[10:11] offset:16
	global_store_dwordx4 v32, v[12:15], s[10:11] offset:32
	;; [unrolled: 1-line block ×3, first 2 shown]
	s_and_saveexec_b32 s10, s5
	s_cbranch_execz .LBB5_132
; %bb.125:
	v_mov_b32_e32 v12, 0
	v_mov_b32_e32 v13, s8
	;; [unrolled: 1-line block ×3, first 2 shown]
	s_clause 0x1
	global_load_dwordx2 v[15:16], v12, s[6:7] offset:32 glc dlc
	global_load_dwordx2 v[4:5], v12, s[6:7] offset:40
	s_waitcnt vmcnt(0)
	v_readfirstlane_b32 s12, v4
	v_readfirstlane_b32 s13, v5
	s_and_b64 s[12:13], s[12:13], s[8:9]
	s_mul_i32 s11, s13, 24
	s_mul_hi_u32 s13, s12, 24
	s_mul_i32 s12, s12, 24
	s_add_i32 s13, s13, s11
	v_add_co_u32 v8, vcc_lo, v8, s12
	v_add_co_ci_u32_e64 v9, null, s13, v9, vcc_lo
	s_mov_b32 s11, exec_lo
	global_store_dwordx2 v[8:9], v[15:16], off
	s_waitcnt_vscnt null, 0x0
	global_atomic_cmpswap_x2 v[6:7], v12, v[13:16], s[6:7] offset:32 glc
	s_waitcnt vmcnt(0)
	v_cmpx_ne_u64_e64 v[6:7], v[15:16]
	s_cbranch_execz .LBB5_128
; %bb.126:
	s_mov_b32 s12, 0
.LBB5_127:                              ; =>This Inner Loop Header: Depth=1
	v_mov_b32_e32 v4, s8
	v_mov_b32_e32 v5, s9
	s_sleep 1
	global_store_dwordx2 v[8:9], v[6:7], off
	s_waitcnt_vscnt null, 0x0
	global_atomic_cmpswap_x2 v[4:5], v12, v[4:7], s[6:7] offset:32 glc
	s_waitcnt vmcnt(0)
	v_cmp_eq_u64_e32 vcc_lo, v[4:5], v[6:7]
	v_mov_b32_e32 v7, v5
	v_mov_b32_e32 v6, v4
	s_or_b32 s12, vcc_lo, s12
	s_andn2_b32 exec_lo, exec_lo, s12
	s_cbranch_execnz .LBB5_127
.LBB5_128:
	s_or_b32 exec_lo, exec_lo, s11
	v_mov_b32_e32 v7, 0
	s_mov_b32 s12, exec_lo
	s_mov_b32 s11, exec_lo
	v_mbcnt_lo_u32_b32 v6, s12, 0
	global_load_dwordx2 v[4:5], v7, s[6:7] offset:16
	v_cmpx_eq_u32_e32 0, v6
	s_cbranch_execz .LBB5_130
; %bb.129:
	s_bcnt1_i32_b32 s12, s12
	v_mov_b32_e32 v6, s12
	s_waitcnt vmcnt(0)
	global_atomic_add_x2 v[4:5], v[6:7], off offset:8
.LBB5_130:
	s_or_b32 exec_lo, exec_lo, s11
	s_waitcnt vmcnt(0)
	global_load_dwordx2 v[6:7], v[4:5], off offset:16
	s_waitcnt vmcnt(0)
	v_cmp_eq_u64_e32 vcc_lo, 0, v[6:7]
	s_cbranch_vccnz .LBB5_132
; %bb.131:
	global_load_dword v4, v[4:5], off offset:24
	v_mov_b32_e32 v5, 0
	s_waitcnt vmcnt(0)
	v_readfirstlane_b32 s11, v4
	s_waitcnt_vscnt null, 0x0
	global_store_dwordx2 v[6:7], v[4:5], off
	s_and_b32 m0, s11, 0x7fffff
	s_sendmsg sendmsg(MSG_INTERRUPT)
.LBB5_132:
	s_or_b32 exec_lo, exec_lo, s10
	s_branch .LBB5_136
	.p2align	6
.LBB5_133:                              ;   in Loop: Header=BB5_136 Depth=1
	s_or_b32 exec_lo, exec_lo, s10
	v_readfirstlane_b32 s10, v4
	s_cmp_eq_u32 s10, 0
	s_cbranch_scc1 .LBB5_135
; %bb.134:                              ;   in Loop: Header=BB5_136 Depth=1
	s_sleep 1
	s_cbranch_execnz .LBB5_136
	s_branch .LBB5_138
	.p2align	6
.LBB5_135:
	s_branch .LBB5_138
.LBB5_136:                              ; =>This Inner Loop Header: Depth=1
	v_mov_b32_e32 v4, 1
	s_and_saveexec_b32 s10, s5
	s_cbranch_execz .LBB5_133
; %bb.137:                              ;   in Loop: Header=BB5_136 Depth=1
	global_load_dword v4, v[1:2], off offset:20 glc dlc
	s_waitcnt vmcnt(0)
	buffer_gl1_inv
	buffer_gl0_inv
	v_and_b32_e32 v4, 1, v4
	s_branch .LBB5_133
.LBB5_138:
	global_load_dwordx2 v[6:7], v[10:11], off
	s_and_saveexec_b32 s10, s5
	s_cbranch_execz .LBB5_142
; %bb.139:
	v_mov_b32_e32 v4, 0
	s_clause 0x2
	global_load_dwordx2 v[1:2], v4, s[6:7] offset:40
	global_load_dwordx2 v[12:13], v4, s[6:7] offset:24 glc dlc
	global_load_dwordx2 v[8:9], v4, s[6:7]
	s_waitcnt vmcnt(2)
	v_readfirstlane_b32 s12, v1
	v_readfirstlane_b32 s13, v2
	s_add_u32 s5, s12, 1
	s_addc_u32 s11, s13, 0
	s_add_u32 s8, s5, s8
	s_addc_u32 s9, s11, s9
	s_cmp_eq_u64 s[8:9], 0
	s_cselect_b32 s9, s11, s9
	s_cselect_b32 s8, s5, s8
	v_mov_b32_e32 v11, s9
	s_and_b64 s[12:13], s[8:9], s[12:13]
	v_mov_b32_e32 v10, s8
	s_mul_i32 s5, s13, 24
	s_mul_hi_u32 s11, s12, 24
	s_mul_i32 s12, s12, 24
	s_add_i32 s11, s11, s5
	s_waitcnt vmcnt(0)
	v_add_co_u32 v1, vcc_lo, v8, s12
	v_add_co_ci_u32_e64 v2, null, s11, v9, vcc_lo
	global_store_dwordx2 v[1:2], v[12:13], off
	s_waitcnt_vscnt null, 0x0
	global_atomic_cmpswap_x2 v[10:11], v4, v[10:13], s[6:7] offset:24 glc
	s_waitcnt vmcnt(0)
	v_cmp_ne_u64_e32 vcc_lo, v[10:11], v[12:13]
	s_and_b32 exec_lo, exec_lo, vcc_lo
	s_cbranch_execz .LBB5_142
; %bb.140:
	s_mov_b32 s5, 0
.LBB5_141:                              ; =>This Inner Loop Header: Depth=1
	v_mov_b32_e32 v8, s8
	v_mov_b32_e32 v9, s9
	s_sleep 1
	global_store_dwordx2 v[1:2], v[10:11], off
	s_waitcnt_vscnt null, 0x0
	global_atomic_cmpswap_x2 v[8:9], v4, v[8:11], s[6:7] offset:24 glc
	s_waitcnt vmcnt(0)
	v_cmp_eq_u64_e32 vcc_lo, v[8:9], v[10:11]
	v_mov_b32_e32 v11, v9
	v_mov_b32_e32 v10, v8
	s_or_b32 s5, vcc_lo, s5
	s_andn2_b32 exec_lo, exec_lo, s5
	s_cbranch_execnz .LBB5_141
.LBB5_142:
	s_or_b32 exec_lo, exec_lo, s10
.LBB5_143:
	v_readfirstlane_b32 s5, v33
	v_mov_b32_e32 v1, 0
	v_mov_b32_e32 v2, 0
	v_cmp_eq_u32_e64 s5, s5, v33
	s_and_saveexec_b32 s8, s5
	s_cbranch_execz .LBB5_149
; %bb.144:
	s_waitcnt vmcnt(0)
	v_mov_b32_e32 v4, 0
	s_mov_b32 s9, exec_lo
	global_load_dwordx2 v[10:11], v4, s[6:7] offset:24 glc dlc
	s_waitcnt vmcnt(0)
	buffer_gl1_inv
	buffer_gl0_inv
	s_clause 0x1
	global_load_dwordx2 v[1:2], v4, s[6:7] offset:40
	global_load_dwordx2 v[8:9], v4, s[6:7]
	s_waitcnt vmcnt(1)
	v_and_b32_e32 v2, v2, v11
	v_and_b32_e32 v1, v1, v10
	v_mul_lo_u32 v2, v2, 24
	v_mul_hi_u32 v5, v1, 24
	v_mul_lo_u32 v1, v1, 24
	v_add_nc_u32_e32 v2, v5, v2
	s_waitcnt vmcnt(0)
	v_add_co_u32 v1, vcc_lo, v8, v1
	v_add_co_ci_u32_e64 v2, null, v9, v2, vcc_lo
	global_load_dwordx2 v[8:9], v[1:2], off glc dlc
	s_waitcnt vmcnt(0)
	global_atomic_cmpswap_x2 v[1:2], v4, v[8:11], s[6:7] offset:24 glc
	s_waitcnt vmcnt(0)
	buffer_gl1_inv
	buffer_gl0_inv
	v_cmpx_ne_u64_e64 v[1:2], v[10:11]
	s_cbranch_execz .LBB5_148
; %bb.145:
	s_mov_b32 s10, 0
	.p2align	6
.LBB5_146:                              ; =>This Inner Loop Header: Depth=1
	s_sleep 1
	s_clause 0x1
	global_load_dwordx2 v[8:9], v4, s[6:7] offset:40
	global_load_dwordx2 v[12:13], v4, s[6:7]
	v_mov_b32_e32 v11, v2
	v_mov_b32_e32 v10, v1
	s_waitcnt vmcnt(1)
	v_and_b32_e32 v1, v8, v10
	v_and_b32_e32 v5, v9, v11
	s_waitcnt vmcnt(0)
	v_mad_u64_u32 v[1:2], null, v1, 24, v[12:13]
	v_mad_u64_u32 v[8:9], null, v5, 24, v[2:3]
	v_mov_b32_e32 v2, v8
	global_load_dwordx2 v[8:9], v[1:2], off glc dlc
	s_waitcnt vmcnt(0)
	global_atomic_cmpswap_x2 v[1:2], v4, v[8:11], s[6:7] offset:24 glc
	s_waitcnt vmcnt(0)
	buffer_gl1_inv
	buffer_gl0_inv
	v_cmp_eq_u64_e32 vcc_lo, v[1:2], v[10:11]
	s_or_b32 s10, vcc_lo, s10
	s_andn2_b32 exec_lo, exec_lo, s10
	s_cbranch_execnz .LBB5_146
; %bb.147:
	s_or_b32 exec_lo, exec_lo, s10
.LBB5_148:
	s_or_b32 exec_lo, exec_lo, s9
.LBB5_149:
	s_or_b32 exec_lo, exec_lo, s8
	v_mov_b32_e32 v9, 0
	v_readfirstlane_b32 s9, v2
	v_readfirstlane_b32 s8, v1
	s_mov_b32 s12, exec_lo
	s_clause 0x1
	global_load_dwordx2 v[4:5], v9, s[6:7] offset:40
	global_load_dwordx4 v[10:13], v9, s[6:7]
	s_waitcnt vmcnt(1)
	v_readfirstlane_b32 s10, v4
	v_readfirstlane_b32 s11, v5
	s_and_b64 s[10:11], s[10:11], s[8:9]
	s_mul_i32 s13, s11, 24
	s_mul_hi_u32 s14, s10, 24
	s_mul_i32 s15, s10, 24
	s_add_i32 s14, s14, s13
	s_waitcnt vmcnt(0)
	v_add_co_u32 v1, vcc_lo, v10, s15
	v_add_co_ci_u32_e64 v2, null, s14, v11, vcc_lo
	s_and_saveexec_b32 s13, s5
	s_cbranch_execz .LBB5_151
; %bb.150:
	v_mov_b32_e32 v8, s12
	v_mov_b32_e32 v15, v9
	;; [unrolled: 1-line block ×5, first 2 shown]
	global_store_dwordx4 v[1:2], v[14:17], off offset:8
.LBB5_151:
	s_or_b32 exec_lo, exec_lo, s13
	s_lshl_b64 s[10:11], s[10:11], 12
	s_mov_b32 s12, 0
	v_add_co_u32 v4, vcc_lo, v12, s10
	v_add_co_ci_u32_e64 v5, null, s11, v13, vcc_lo
	s_mov_b32 s15, s12
	v_add_co_u32 v12, vcc_lo, v4, v32
	s_mov_b32 s13, s12
	s_mov_b32 s14, s12
	v_and_or_b32 v6, 0xffffff1f, v6, 32
	v_mov_b32_e32 v8, v34
	v_readfirstlane_b32 s10, v4
	v_readfirstlane_b32 s11, v5
	v_mov_b32_e32 v17, s15
	v_add_co_ci_u32_e64 v13, null, 0, v5, vcc_lo
	v_mov_b32_e32 v16, s14
	v_mov_b32_e32 v15, s13
	;; [unrolled: 1-line block ×3, first 2 shown]
	global_store_dwordx4 v32, v[6:9], s[10:11]
	global_store_dwordx4 v32, v[14:17], s[10:11] offset:16
	global_store_dwordx4 v32, v[14:17], s[10:11] offset:32
	;; [unrolled: 1-line block ×3, first 2 shown]
	s_and_saveexec_b32 s10, s5
	s_cbranch_execz .LBB5_159
; %bb.152:
	v_mov_b32_e32 v14, 0
	v_mov_b32_e32 v15, s8
	;; [unrolled: 1-line block ×3, first 2 shown]
	s_clause 0x1
	global_load_dwordx2 v[17:18], v14, s[6:7] offset:32 glc dlc
	global_load_dwordx2 v[4:5], v14, s[6:7] offset:40
	s_waitcnt vmcnt(0)
	v_readfirstlane_b32 s12, v4
	v_readfirstlane_b32 s13, v5
	s_and_b64 s[12:13], s[12:13], s[8:9]
	s_mul_i32 s11, s13, 24
	s_mul_hi_u32 s13, s12, 24
	s_mul_i32 s12, s12, 24
	s_add_i32 s13, s13, s11
	v_add_co_u32 v8, vcc_lo, v10, s12
	v_add_co_ci_u32_e64 v9, null, s13, v11, vcc_lo
	s_mov_b32 s11, exec_lo
	global_store_dwordx2 v[8:9], v[17:18], off
	s_waitcnt_vscnt null, 0x0
	global_atomic_cmpswap_x2 v[6:7], v14, v[15:18], s[6:7] offset:32 glc
	s_waitcnt vmcnt(0)
	v_cmpx_ne_u64_e64 v[6:7], v[17:18]
	s_cbranch_execz .LBB5_155
; %bb.153:
	s_mov_b32 s12, 0
.LBB5_154:                              ; =>This Inner Loop Header: Depth=1
	v_mov_b32_e32 v4, s8
	v_mov_b32_e32 v5, s9
	s_sleep 1
	global_store_dwordx2 v[8:9], v[6:7], off
	s_waitcnt_vscnt null, 0x0
	global_atomic_cmpswap_x2 v[4:5], v14, v[4:7], s[6:7] offset:32 glc
	s_waitcnt vmcnt(0)
	v_cmp_eq_u64_e32 vcc_lo, v[4:5], v[6:7]
	v_mov_b32_e32 v7, v5
	v_mov_b32_e32 v6, v4
	s_or_b32 s12, vcc_lo, s12
	s_andn2_b32 exec_lo, exec_lo, s12
	s_cbranch_execnz .LBB5_154
.LBB5_155:
	s_or_b32 exec_lo, exec_lo, s11
	v_mov_b32_e32 v7, 0
	s_mov_b32 s12, exec_lo
	s_mov_b32 s11, exec_lo
	v_mbcnt_lo_u32_b32 v6, s12, 0
	global_load_dwordx2 v[4:5], v7, s[6:7] offset:16
	v_cmpx_eq_u32_e32 0, v6
	s_cbranch_execz .LBB5_157
; %bb.156:
	s_bcnt1_i32_b32 s12, s12
	v_mov_b32_e32 v6, s12
	s_waitcnt vmcnt(0)
	global_atomic_add_x2 v[4:5], v[6:7], off offset:8
.LBB5_157:
	s_or_b32 exec_lo, exec_lo, s11
	s_waitcnt vmcnt(0)
	global_load_dwordx2 v[6:7], v[4:5], off offset:16
	s_waitcnt vmcnt(0)
	v_cmp_eq_u64_e32 vcc_lo, 0, v[6:7]
	s_cbranch_vccnz .LBB5_159
; %bb.158:
	global_load_dword v4, v[4:5], off offset:24
	v_mov_b32_e32 v5, 0
	s_waitcnt vmcnt(0)
	v_readfirstlane_b32 s11, v4
	s_waitcnt_vscnt null, 0x0
	global_store_dwordx2 v[6:7], v[4:5], off
	s_and_b32 m0, s11, 0x7fffff
	s_sendmsg sendmsg(MSG_INTERRUPT)
.LBB5_159:
	s_or_b32 exec_lo, exec_lo, s10
	s_branch .LBB5_163
	.p2align	6
.LBB5_160:                              ;   in Loop: Header=BB5_163 Depth=1
	s_or_b32 exec_lo, exec_lo, s10
	v_readfirstlane_b32 s10, v4
	s_cmp_eq_u32 s10, 0
	s_cbranch_scc1 .LBB5_162
; %bb.161:                              ;   in Loop: Header=BB5_163 Depth=1
	s_sleep 1
	s_cbranch_execnz .LBB5_163
	s_branch .LBB5_165
	.p2align	6
.LBB5_162:
	s_branch .LBB5_165
.LBB5_163:                              ; =>This Inner Loop Header: Depth=1
	v_mov_b32_e32 v4, 1
	s_and_saveexec_b32 s10, s5
	s_cbranch_execz .LBB5_160
; %bb.164:                              ;   in Loop: Header=BB5_163 Depth=1
	global_load_dword v4, v[1:2], off offset:20 glc dlc
	s_waitcnt vmcnt(0)
	buffer_gl1_inv
	buffer_gl0_inv
	v_and_b32_e32 v4, 1, v4
	s_branch .LBB5_160
.LBB5_165:
	global_load_dwordx2 v[1:2], v[12:13], off
	s_and_saveexec_b32 s10, s5
	s_cbranch_execz .LBB5_169
; %bb.166:
	v_mov_b32_e32 v10, 0
	s_clause 0x2
	global_load_dwordx2 v[4:5], v10, s[6:7] offset:40
	global_load_dwordx2 v[13:14], v10, s[6:7] offset:24 glc dlc
	global_load_dwordx2 v[6:7], v10, s[6:7]
	s_waitcnt vmcnt(2)
	v_readfirstlane_b32 s12, v4
	v_readfirstlane_b32 s13, v5
	s_add_u32 s5, s12, 1
	s_addc_u32 s11, s13, 0
	s_add_u32 s8, s5, s8
	s_addc_u32 s9, s11, s9
	s_cmp_eq_u64 s[8:9], 0
	s_cselect_b32 s9, s11, s9
	s_cselect_b32 s8, s5, s8
	v_mov_b32_e32 v12, s9
	s_and_b64 s[12:13], s[8:9], s[12:13]
	v_mov_b32_e32 v11, s8
	s_mul_i32 s5, s13, 24
	s_mul_hi_u32 s11, s12, 24
	s_mul_i32 s12, s12, 24
	s_add_i32 s11, s11, s5
	s_waitcnt vmcnt(0)
	v_add_co_u32 v8, vcc_lo, v6, s12
	v_add_co_ci_u32_e64 v9, null, s11, v7, vcc_lo
	global_store_dwordx2 v[8:9], v[13:14], off
	s_waitcnt_vscnt null, 0x0
	global_atomic_cmpswap_x2 v[6:7], v10, v[11:14], s[6:7] offset:24 glc
	s_waitcnt vmcnt(0)
	v_cmp_ne_u64_e32 vcc_lo, v[6:7], v[13:14]
	s_and_b32 exec_lo, exec_lo, vcc_lo
	s_cbranch_execz .LBB5_169
; %bb.167:
	s_mov_b32 s5, 0
.LBB5_168:                              ; =>This Inner Loop Header: Depth=1
	v_mov_b32_e32 v4, s8
	v_mov_b32_e32 v5, s9
	s_sleep 1
	global_store_dwordx2 v[8:9], v[6:7], off
	s_waitcnt_vscnt null, 0x0
	global_atomic_cmpswap_x2 v[4:5], v10, v[4:7], s[6:7] offset:24 glc
	s_waitcnt vmcnt(0)
	v_cmp_eq_u64_e32 vcc_lo, v[4:5], v[6:7]
	v_mov_b32_e32 v7, v5
	v_mov_b32_e32 v6, v4
	s_or_b32 s5, vcc_lo, s5
	s_andn2_b32 exec_lo, exec_lo, s5
	s_cbranch_execnz .LBB5_168
.LBB5_169:
	s_or_b32 exec_lo, exec_lo, s10
	v_readfirstlane_b32 s5, v33
	v_mov_b32_e32 v9, 0
	v_mov_b32_e32 v10, 0
	v_cmp_eq_u32_e64 s5, s5, v33
	s_and_saveexec_b32 s8, s5
	s_cbranch_execz .LBB5_175
; %bb.170:
	v_mov_b32_e32 v4, 0
	s_mov_b32 s9, exec_lo
	global_load_dwordx2 v[7:8], v4, s[6:7] offset:24 glc dlc
	s_waitcnt vmcnt(0)
	buffer_gl1_inv
	buffer_gl0_inv
	s_clause 0x1
	global_load_dwordx2 v[5:6], v4, s[6:7] offset:40
	global_load_dwordx2 v[9:10], v4, s[6:7]
	s_waitcnt vmcnt(1)
	v_and_b32_e32 v6, v6, v8
	v_and_b32_e32 v5, v5, v7
	v_mul_lo_u32 v6, v6, 24
	v_mul_hi_u32 v11, v5, 24
	v_mul_lo_u32 v5, v5, 24
	v_add_nc_u32_e32 v6, v11, v6
	s_waitcnt vmcnt(0)
	v_add_co_u32 v5, vcc_lo, v9, v5
	v_add_co_ci_u32_e64 v6, null, v10, v6, vcc_lo
	global_load_dwordx2 v[5:6], v[5:6], off glc dlc
	s_waitcnt vmcnt(0)
	global_atomic_cmpswap_x2 v[9:10], v4, v[5:8], s[6:7] offset:24 glc
	s_waitcnt vmcnt(0)
	buffer_gl1_inv
	buffer_gl0_inv
	v_cmpx_ne_u64_e64 v[9:10], v[7:8]
	s_cbranch_execz .LBB5_174
; %bb.171:
	s_mov_b32 s10, 0
	.p2align	6
.LBB5_172:                              ; =>This Inner Loop Header: Depth=1
	s_sleep 1
	s_clause 0x1
	global_load_dwordx2 v[5:6], v4, s[6:7] offset:40
	global_load_dwordx2 v[11:12], v4, s[6:7]
	v_mov_b32_e32 v7, v9
	v_mov_b32_e32 v8, v10
	s_waitcnt vmcnt(1)
	v_and_b32_e32 v5, v5, v7
	v_and_b32_e32 v6, v6, v8
	s_waitcnt vmcnt(0)
	v_mad_u64_u32 v[9:10], null, v5, 24, v[11:12]
	v_mov_b32_e32 v5, v10
	v_mad_u64_u32 v[5:6], null, v6, 24, v[5:6]
	v_mov_b32_e32 v10, v5
	global_load_dwordx2 v[5:6], v[9:10], off glc dlc
	s_waitcnt vmcnt(0)
	global_atomic_cmpswap_x2 v[9:10], v4, v[5:8], s[6:7] offset:24 glc
	s_waitcnt vmcnt(0)
	buffer_gl1_inv
	buffer_gl0_inv
	v_cmp_eq_u64_e32 vcc_lo, v[9:10], v[7:8]
	s_or_b32 s10, vcc_lo, s10
	s_andn2_b32 exec_lo, exec_lo, s10
	s_cbranch_execnz .LBB5_172
; %bb.173:
	s_or_b32 exec_lo, exec_lo, s10
.LBB5_174:
	s_or_b32 exec_lo, exec_lo, s9
.LBB5_175:
	s_or_b32 exec_lo, exec_lo, s8
	v_mov_b32_e32 v4, 0
	v_readfirstlane_b32 s9, v10
	v_readfirstlane_b32 s8, v9
	s_mov_b32 s12, exec_lo
	s_clause 0x1
	global_load_dwordx2 v[11:12], v4, s[6:7] offset:40
	global_load_dwordx4 v[5:8], v4, s[6:7]
	s_waitcnt vmcnt(1)
	v_readfirstlane_b32 s10, v11
	v_readfirstlane_b32 s11, v12
	s_and_b64 s[10:11], s[10:11], s[8:9]
	s_mul_i32 s13, s11, 24
	s_mul_hi_u32 s14, s10, 24
	s_mul_i32 s15, s10, 24
	s_add_i32 s14, s14, s13
	s_waitcnt vmcnt(0)
	v_add_co_u32 v9, vcc_lo, v5, s15
	v_add_co_ci_u32_e64 v10, null, s14, v6, vcc_lo
	s_and_saveexec_b32 s13, s5
	s_cbranch_execz .LBB5_177
; %bb.176:
	v_mov_b32_e32 v11, s12
	v_mov_b32_e32 v12, v4
	;; [unrolled: 1-line block ×4, first 2 shown]
	global_store_dwordx4 v[9:10], v[11:14], off offset:8
.LBB5_177:
	s_or_b32 exec_lo, exec_lo, s13
	s_lshl_b64 s[10:11], s[10:11], 12
	s_mov_b32 s12, 0
	v_add_co_u32 v7, vcc_lo, v7, s10
	v_add_co_ci_u32_e64 v8, null, s11, v8, vcc_lo
	s_mov_b32 s13, s12
	s_mov_b32 s14, s12
	;; [unrolled: 1-line block ×3, first 2 shown]
	v_and_or_b32 v1, 0xffffff1d, v1, 34
	v_readfirstlane_b32 s10, v7
	v_readfirstlane_b32 s11, v8
	v_mov_b32_e32 v11, s12
	v_mov_b32_e32 v12, s13
	;; [unrolled: 1-line block ×4, first 2 shown]
	global_store_dwordx4 v32, v[1:4], s[10:11]
	global_store_dwordx4 v32, v[11:14], s[10:11] offset:16
	global_store_dwordx4 v32, v[11:14], s[10:11] offset:32
	;; [unrolled: 1-line block ×3, first 2 shown]
	s_and_saveexec_b32 s10, s5
	s_cbranch_execz .LBB5_185
; %bb.178:
	v_mov_b32_e32 v7, 0
	v_mov_b32_e32 v11, s8
	;; [unrolled: 1-line block ×3, first 2 shown]
	s_clause 0x1
	global_load_dwordx2 v[13:14], v7, s[6:7] offset:32 glc dlc
	global_load_dwordx2 v[1:2], v7, s[6:7] offset:40
	s_waitcnt vmcnt(0)
	v_readfirstlane_b32 s12, v1
	v_readfirstlane_b32 s13, v2
	s_and_b64 s[12:13], s[12:13], s[8:9]
	s_mul_i32 s11, s13, 24
	s_mul_hi_u32 s13, s12, 24
	s_mul_i32 s12, s12, 24
	s_add_i32 s13, s13, s11
	v_add_co_u32 v5, vcc_lo, v5, s12
	v_add_co_ci_u32_e64 v6, null, s13, v6, vcc_lo
	s_mov_b32 s11, exec_lo
	global_store_dwordx2 v[5:6], v[13:14], off
	s_waitcnt_vscnt null, 0x0
	global_atomic_cmpswap_x2 v[3:4], v7, v[11:14], s[6:7] offset:32 glc
	s_waitcnt vmcnt(0)
	v_cmpx_ne_u64_e64 v[3:4], v[13:14]
	s_cbranch_execz .LBB5_181
; %bb.179:
	s_mov_b32 s12, 0
.LBB5_180:                              ; =>This Inner Loop Header: Depth=1
	v_mov_b32_e32 v1, s8
	v_mov_b32_e32 v2, s9
	s_sleep 1
	global_store_dwordx2 v[5:6], v[3:4], off
	s_waitcnt_vscnt null, 0x0
	global_atomic_cmpswap_x2 v[1:2], v7, v[1:4], s[6:7] offset:32 glc
	s_waitcnt vmcnt(0)
	v_cmp_eq_u64_e32 vcc_lo, v[1:2], v[3:4]
	v_mov_b32_e32 v4, v2
	v_mov_b32_e32 v3, v1
	s_or_b32 s12, vcc_lo, s12
	s_andn2_b32 exec_lo, exec_lo, s12
	s_cbranch_execnz .LBB5_180
.LBB5_181:
	s_or_b32 exec_lo, exec_lo, s11
	v_mov_b32_e32 v4, 0
	s_mov_b32 s12, exec_lo
	s_mov_b32 s11, exec_lo
	v_mbcnt_lo_u32_b32 v3, s12, 0
	global_load_dwordx2 v[1:2], v4, s[6:7] offset:16
	v_cmpx_eq_u32_e32 0, v3
	s_cbranch_execz .LBB5_183
; %bb.182:
	s_bcnt1_i32_b32 s12, s12
	v_mov_b32_e32 v3, s12
	s_waitcnt vmcnt(0)
	global_atomic_add_x2 v[1:2], v[3:4], off offset:8
.LBB5_183:
	s_or_b32 exec_lo, exec_lo, s11
	s_waitcnt vmcnt(0)
	global_load_dwordx2 v[3:4], v[1:2], off offset:16
	s_waitcnt vmcnt(0)
	v_cmp_eq_u64_e32 vcc_lo, 0, v[3:4]
	s_cbranch_vccnz .LBB5_185
; %bb.184:
	global_load_dword v1, v[1:2], off offset:24
	v_mov_b32_e32 v2, 0
	s_waitcnt vmcnt(0)
	v_readfirstlane_b32 s11, v1
	s_waitcnt_vscnt null, 0x0
	global_store_dwordx2 v[3:4], v[1:2], off
	s_and_b32 m0, s11, 0x7fffff
	s_sendmsg sendmsg(MSG_INTERRUPT)
.LBB5_185:
	s_or_b32 exec_lo, exec_lo, s10
	s_branch .LBB5_189
	.p2align	6
.LBB5_186:                              ;   in Loop: Header=BB5_189 Depth=1
	s_or_b32 exec_lo, exec_lo, s10
	v_readfirstlane_b32 s10, v1
	s_cmp_eq_u32 s10, 0
	s_cbranch_scc1 .LBB5_188
; %bb.187:                              ;   in Loop: Header=BB5_189 Depth=1
	s_sleep 1
	s_cbranch_execnz .LBB5_189
	s_branch .LBB5_191
	.p2align	6
.LBB5_188:
	s_branch .LBB5_191
.LBB5_189:                              ; =>This Inner Loop Header: Depth=1
	v_mov_b32_e32 v1, 1
	s_and_saveexec_b32 s10, s5
	s_cbranch_execz .LBB5_186
; %bb.190:                              ;   in Loop: Header=BB5_189 Depth=1
	global_load_dword v1, v[9:10], off offset:20 glc dlc
	s_waitcnt vmcnt(0)
	buffer_gl1_inv
	buffer_gl0_inv
	v_and_b32_e32 v1, 1, v1
	s_branch .LBB5_186
.LBB5_191:
	s_and_b32 exec_lo, exec_lo, s5
	s_cbranch_execz .LBB5_195
; %bb.192:
	v_mov_b32_e32 v7, 0
	s_clause 0x2
	global_load_dwordx2 v[1:2], v7, s[6:7] offset:40
	global_load_dwordx2 v[10:11], v7, s[6:7] offset:24 glc dlc
	global_load_dwordx2 v[3:4], v7, s[6:7]
	s_waitcnt vmcnt(2)
	v_readfirstlane_b32 s10, v1
	v_readfirstlane_b32 s11, v2
	s_add_u32 s5, s10, 1
	s_addc_u32 s12, s11, 0
	s_add_u32 s8, s5, s8
	s_addc_u32 s9, s12, s9
	s_cmp_eq_u64 s[8:9], 0
	s_cselect_b32 s9, s12, s9
	s_cselect_b32 s8, s5, s8
	v_mov_b32_e32 v9, s9
	s_and_b64 s[10:11], s[8:9], s[10:11]
	v_mov_b32_e32 v8, s8
	s_mul_i32 s5, s11, 24
	s_mul_hi_u32 s11, s10, 24
	s_mul_i32 s10, s10, 24
	s_add_i32 s11, s11, s5
	s_waitcnt vmcnt(0)
	v_add_co_u32 v5, vcc_lo, v3, s10
	v_add_co_ci_u32_e64 v6, null, s11, v4, vcc_lo
	global_store_dwordx2 v[5:6], v[10:11], off
	s_waitcnt_vscnt null, 0x0
	global_atomic_cmpswap_x2 v[3:4], v7, v[8:11], s[6:7] offset:24 glc
	s_waitcnt vmcnt(0)
	v_cmp_ne_u64_e32 vcc_lo, v[3:4], v[10:11]
	s_and_b32 exec_lo, exec_lo, vcc_lo
	s_cbranch_execz .LBB5_195
; %bb.193:
	s_mov_b32 s5, 0
.LBB5_194:                              ; =>This Inner Loop Header: Depth=1
	v_mov_b32_e32 v1, s8
	v_mov_b32_e32 v2, s9
	s_sleep 1
	global_store_dwordx2 v[5:6], v[3:4], off
	s_waitcnt_vscnt null, 0x0
	global_atomic_cmpswap_x2 v[1:2], v7, v[1:4], s[6:7] offset:24 glc
	s_waitcnt vmcnt(0)
	v_cmp_eq_u64_e32 vcc_lo, v[1:2], v[3:4]
	v_mov_b32_e32 v4, v2
	v_mov_b32_e32 v3, v1
	s_or_b32 s5, vcc_lo, s5
	s_andn2_b32 exec_lo, exec_lo, s5
	s_cbranch_execnz .LBB5_194
.LBB5_195:
	s_or_b32 exec_lo, exec_lo, s20
	v_or_b32_e32 v0, v0, v44
	s_xor_b32 s4, s4, -1
                                        ; implicit-def: $vgpr52
	v_cmp_lt_i32_e32 vcc_lo, -1, v0
	s_and_b32 s4, vcc_lo, s4
	s_and_saveexec_b32 s5, s4
	s_xor_b32 s4, exec_lo, s5
	s_cbranch_execz .LBB5_197
; %bb.196:
	flat_load_dword v0, v[40:41]
	v_lshl_or_b32 v29, v31, 1, 1
	s_waitcnt vmcnt(0) lgkmcnt(0)
	v_ashrrev_i32_e32 v1, 31, v0
	v_add_nc_u32_e32 v3, 1, v0
	v_lshl_or_b32 v52, v0, 1, 1
	v_lshlrev_b64 v[1:2], 3, v[0:1]
	v_add_co_u32 v1, vcc_lo, v40, v1
	v_add_co_ci_u32_e64 v2, null, v41, v2, vcc_lo
	flat_store_dword v[40:41], v3
	flat_store_dwordx2 v[1:2], v[29:30] offset:8
.LBB5_197:
	s_or_saveexec_b32 s23, s4
	s_mov_b32 s4, s21
	s_xor_b32 exec_lo, exec_lo, s23
	s_cbranch_execz .LBB5_199
; %bb.198:
	s_getpc_b64 s[4:5]
	s_add_u32 s4, s4, .str.46@rel32@lo+4
	s_addc_u32 s5, s5, .str.46@rel32@hi+12
	s_getpc_b64 s[6:7]
	s_add_u32 s6, s6, .str.44@rel32@lo+4
	s_addc_u32 s7, s7, .str.44@rel32@hi+12
	s_getpc_b64 s[8:9]
	s_add_u32 s8, s8, __PRETTY_FUNCTION__._ZN8subgUtil18formAndNodeKeyFlagEiii@rel32@lo+4
	s_addc_u32 s9, s9, __PRETTY_FUNCTION__._ZN8subgUtil18formAndNodeKeyFlagEiii@rel32@hi+12
	v_mov_b32_e32 v0, s4
	v_mov_b32_e32 v1, s5
	;; [unrolled: 1-line block ×7, first 2 shown]
	s_getpc_b64 s[10:11]
	s_add_u32 s10, s10, __assert_fail@rel32@lo+4
	s_addc_u32 s11, s11, __assert_fail@rel32@hi+12
	s_mov_b64 s[8:9], s[34:35]
	s_swappc_b64 s[30:31], s[10:11]
	s_or_b32 s4, s21, exec_lo
.LBB5_199:
	s_or_b32 exec_lo, exec_lo, s23
	s_andn2_b32 s5, s21, exec_lo
	s_and_b32 s4, s4, exec_lo
	s_or_b32 s21, s5, s4
	s_or_b32 exec_lo, exec_lo, s22
	s_and_saveexec_b32 s4, s21
	s_cbranch_execnz .LBB5_4
	s_branch .LBB5_5
.Lfunc_end5:
	.size	_ZN3sop19sopFactorTrivialRecEPjiiPN8subgUtil4SubgILi256EEE, .Lfunc_end5-_ZN3sop19sopFactorTrivialRecEPjiiPN8subgUtil4SubgILi256EEE
                                        ; -- End function
	.set .L_ZN3sop19sopFactorTrivialRecEPjiiPN8subgUtil4SubgILi256EEE.num_vgpr, max(58, .L_ZN3sop23sopFactorTrivialCubeRecEjiiPN8subgUtil4SubgILi256EEE.num_vgpr, .L__assert_fail.num_vgpr)
	.set .L_ZN3sop19sopFactorTrivialRecEPjiiPN8subgUtil4SubgILi256EEE.num_agpr, max(0, .L_ZN3sop23sopFactorTrivialCubeRecEjiiPN8subgUtil4SubgILi256EEE.num_agpr, .L__assert_fail.num_agpr)
	.set .L_ZN3sop19sopFactorTrivialRecEPjiiPN8subgUtil4SubgILi256EEE.numbered_sgpr, max(52, .L_ZN3sop23sopFactorTrivialCubeRecEjiiPN8subgUtil4SubgILi256EEE.numbered_sgpr, .L__assert_fail.numbered_sgpr)
	.set .L_ZN3sop19sopFactorTrivialRecEPjiiPN8subgUtil4SubgILi256EEE.num_named_barrier, max(0, .L_ZN3sop23sopFactorTrivialCubeRecEjiiPN8subgUtil4SubgILi256EEE.num_named_barrier, .L__assert_fail.num_named_barrier)
	.set .L_ZN3sop19sopFactorTrivialRecEPjiiPN8subgUtil4SubgILi256EEE.private_seg_size, 48+max(.L_ZN3sop23sopFactorTrivialCubeRecEjiiPN8subgUtil4SubgILi256EEE.private_seg_size, .L__assert_fail.private_seg_size)
	.set .L_ZN3sop19sopFactorTrivialRecEPjiiPN8subgUtil4SubgILi256EEE.uses_vcc, or(1, .L_ZN3sop23sopFactorTrivialCubeRecEjiiPN8subgUtil4SubgILi256EEE.uses_vcc, .L__assert_fail.uses_vcc)
	.set .L_ZN3sop19sopFactorTrivialRecEPjiiPN8subgUtil4SubgILi256EEE.uses_flat_scratch, or(0, .L_ZN3sop23sopFactorTrivialCubeRecEjiiPN8subgUtil4SubgILi256EEE.uses_flat_scratch, .L__assert_fail.uses_flat_scratch)
	.set .L_ZN3sop19sopFactorTrivialRecEPjiiPN8subgUtil4SubgILi256EEE.has_dyn_sized_stack, or(0, .L_ZN3sop23sopFactorTrivialCubeRecEjiiPN8subgUtil4SubgILi256EEE.has_dyn_sized_stack, .L__assert_fail.has_dyn_sized_stack)
	.set .L_ZN3sop19sopFactorTrivialRecEPjiiPN8subgUtil4SubgILi256EEE.has_recursion, or(1, .L_ZN3sop23sopFactorTrivialCubeRecEjiiPN8subgUtil4SubgILi256EEE.has_recursion, .L__assert_fail.has_recursion)
	.set .L_ZN3sop19sopFactorTrivialRecEPjiiPN8subgUtil4SubgILi256EEE.has_indirect_call, or(0, .L_ZN3sop23sopFactorTrivialCubeRecEjiiPN8subgUtil4SubgILi256EEE.has_indirect_call, .L__assert_fail.has_indirect_call)
	.section	.AMDGPU.csdata,"",@progbits
; Function info:
; codeLenInByte = 8876
; TotalNumSgprs: 54
; NumVgprs: 58
; ScratchSize: 144
; MemoryBound: 0
	.text
	.p2align	2                               ; -- Begin function _ZN3sop12sopFactorRecEPNS_3SopEiP7VecsMemIjLi8192EEPN8subgUtil4SubgILi256EEE
	.type	_ZN3sop12sopFactorRecEPNS_3SopEiP7VecsMemIjLi8192EEPN8subgUtil4SubgILi256EEE,@function
_ZN3sop12sopFactorRecEPNS_3SopEiP7VecsMemIjLi8192EEPN8subgUtil4SubgILi256EEE: ; @_ZN3sop12sopFactorRecEPNS_3SopEiP7VecsMemIjLi8192EEPN8subgUtil4SubgILi256EEE
; %bb.0:
	s_waitcnt vmcnt(0) expcnt(0) lgkmcnt(0)
	s_mov_b32 s4, s33
	s_mov_b32 s33, s32
	s_or_saveexec_b32 s5, -1
	buffer_store_dword v58, off, s[0:3], s33 offset:152 ; 4-byte Folded Spill
	buffer_store_dword v59, off, s[0:3], s33 offset:156 ; 4-byte Folded Spill
	s_mov_b32 exec_lo, s5
	v_writelane_b32 v58, s4, 26
	s_addk_i32 s32, 0x1600
	buffer_store_dword v40, off, s[0:3], s33 offset:36 ; 4-byte Folded Spill
	buffer_store_dword v41, off, s[0:3], s33 offset:32 ; 4-byte Folded Spill
	;; [unrolled: 1-line block ×9, first 2 shown]
	buffer_store_dword v57, off, s[0:3], s33 ; 4-byte Folded Spill
	v_writelane_b32 v58, s34, 0
	v_writelane_b32 v58, s35, 1
	;; [unrolled: 1-line block ×26, first 2 shown]
	v_mov_b32_e32 v53, v1
	v_mov_b32_e32 v52, v0
	;; [unrolled: 1-line block ×6, first 2 shown]
	flat_load_dword v0, v[52:53] offset:4
	v_mov_b32_e32 v47, v2
	s_mov_b64 s[52:53], s[8:9]
	s_mov_b32 s54, 0
	s_mov_b32 s4, exec_lo
	s_waitcnt vmcnt(0) lgkmcnt(0)
	v_cmpx_gt_i32_e32 1, v0
	s_xor_b32 s21, exec_lo, s4
	s_cbranch_execnz .LBB6_5
; %bb.1:
	s_or_saveexec_b32 s55, s21
                                        ; implicit-def: $vgpr41
	s_xor_b32 exec_lo, exec_lo, s55
	s_cbranch_execnz .LBB6_6
.LBB6_2:
	s_or_b32 exec_lo, exec_lo, s55
	s_and_saveexec_b32 s4, s54
.LBB6_3:
	; divergent unreachable
.LBB6_4:
	s_or_b32 exec_lo, exec_lo, s4
	v_mov_b32_e32 v0, v41
	buffer_load_dword v57, off, s[0:3], s33 ; 4-byte Folded Reload
	s_waitcnt lgkmcnt(0)
	s_clause 0x8
	buffer_load_dword v56, off, s[0:3], s33 offset:4
	buffer_load_dword v47, off, s[0:3], s33 offset:8
	;; [unrolled: 1-line block ×9, first 2 shown]
	v_readlane_b32 s30, v58, 24
	v_readlane_b32 s31, v58, 25
	;; [unrolled: 1-line block ×26, first 2 shown]
	s_mov_b32 s32, s33
	v_readlane_b32 s4, v58, 26
	s_or_saveexec_b32 s5, -1
	s_clause 0x1
	buffer_load_dword v58, off, s[0:3], s33 offset:152
	buffer_load_dword v59, off, s[0:3], s33 offset:156
	s_mov_b32 exec_lo, s5
	s_mov_b32 s33, s4
	s_waitcnt vmcnt(0)
	s_setpc_b64 s[30:31]
.LBB6_5:
	s_getpc_b64 s[4:5]
	s_add_u32 s4, s4, .str.33@rel32@lo+4
	s_addc_u32 s5, s5, .str.33@rel32@hi+12
	s_getpc_b64 s[6:7]
	s_add_u32 s6, s6, .str.31@rel32@lo+4
	s_addc_u32 s7, s7, .str.31@rel32@hi+12
	s_getpc_b64 s[8:9]
	s_add_u32 s8, s8, __PRETTY_FUNCTION__._ZN3sop12sopFactorRecEPNS_3SopEiP7VecsMemIjLi8192EEPN8subgUtil4SubgILi256EEE@rel32@lo+4
	s_addc_u32 s9, s9, __PRETTY_FUNCTION__._ZN3sop12sopFactorRecEPNS_3SopEiP7VecsMemIjLi8192EEPN8subgUtil4SubgILi256EEE@rel32@hi+12
	v_mov_b32_e32 v0, s4
	v_mov_b32_e32 v1, s5
	;; [unrolled: 1-line block ×7, first 2 shown]
	s_getpc_b64 s[10:11]
	s_add_u32 s10, s10, __assert_fail@rel32@lo+4
	s_addc_u32 s11, s11, __assert_fail@rel32@hi+12
	s_mov_b64 s[8:9], s[52:53]
	s_swappc_b64 s[30:31], s[10:11]
	s_mov_b32 s54, exec_lo
                                        ; implicit-def: $vgpr44
                                        ; implicit-def: $vgpr0
                                        ; implicit-def: $vgpr47
                                        ; implicit-def: $vgpr52_vgpr53
                                        ; implicit-def: $vgpr42
	s_or_saveexec_b32 s55, s21
                                        ; implicit-def: $vgpr41
	s_xor_b32 exec_lo, exec_lo, s55
	s_cbranch_execz .LBB6_2
.LBB6_6:
	v_cmp_ne_u32_e32 vcc_lo, 1, v0
	v_cmp_lt_i32_e64 s42, 0, v47
	s_mov_b32 s65, 0
	s_mov_b32 s5, -1
	s_mov_b32 s64, s54
	s_mov_b32 s4, -1
	s_and_b32 s6, s42, vcc_lo
                                        ; implicit-def: $vgpr70
                                        ; implicit-def: $vgpr68_vgpr69
	s_and_saveexec_b32 s21, s6
	s_cbranch_execz .LBB6_45
; %bb.7:
	flat_load_dwordx2 v[3:4], v[52:53] offset:8
	s_mov_b32 s6, 0
	s_mov_b32 s7, 0
                                        ; implicit-def: $sgpr5
                                        ; implicit-def: $sgpr8
	s_inst_prefetch 0x1
	s_branch .LBB6_9
	.p2align	6
.LBB6_8:                                ;   in Loop: Header=BB6_9 Depth=1
	s_or_b32 exec_lo, exec_lo, s9
	s_and_b32 s4, exec_lo, s4
	s_or_b32 s6, s4, s6
	s_andn2_b32 s4, s5, exec_lo
	s_and_b32 s5, s8, exec_lo
	s_or_b32 s5, s4, s5
	s_andn2_b32 exec_lo, exec_lo, s6
	s_cbranch_execz .LBB6_13
.LBB6_9:                                ; =>This Loop Header: Depth=1
                                        ;     Child Loop BB6_10 Depth 2
	s_waitcnt vmcnt(0) lgkmcnt(0)
	v_mov_b32_e32 v1, v3
	v_mov_b32_e32 v5, 0
	v_mov_b32_e32 v2, v4
	v_mov_b32_e32 v6, v0
	s_mov_b32 s9, 0
.LBB6_10:                               ;   Parent Loop BB6_9 Depth=1
                                        ; =>  This Inner Loop Header: Depth=2
	flat_load_dword v7, v[1:2]
	v_add_nc_u32_e32 v6, -1, v6
	v_add_co_u32 v1, vcc_lo, v1, 4
	v_add_co_ci_u32_e64 v2, null, 0, v2, vcc_lo
	v_cmp_eq_u32_e64 s4, 0, v6
	s_or_b32 s9, s4, s9
	s_waitcnt vmcnt(0) lgkmcnt(0)
	v_bfe_u32 v7, v7, s7, 1
	v_add_nc_u32_e32 v5, v7, v5
	s_andn2_b32 exec_lo, exec_lo, s9
	s_cbranch_execnz .LBB6_10
; %bb.11:                               ;   in Loop: Header=BB6_9 Depth=1
	s_or_b32 exec_lo, exec_lo, s9
	s_mov_b32 s4, -1
	s_or_b32 s8, s8, exec_lo
	s_mov_b32 s9, exec_lo
	v_cmpx_gt_u32_e32 2, v5
	s_cbranch_execz .LBB6_8
; %bb.12:                               ;   in Loop: Header=BB6_9 Depth=1
	s_add_i32 s7, s7, 1
	s_andn2_b32 s8, s8, exec_lo
	v_cmp_eq_u32_e32 vcc_lo, s7, v47
	s_orn2_b32 s4, vcc_lo, exec_lo
	s_branch .LBB6_8
.LBB6_13:
	s_inst_prefetch 0x2
	s_or_b32 exec_lo, exec_lo, s6
	s_mov_b32 s6, 0
	s_mov_b32 s7, -1
	s_mov_b32 s9, s54
	s_mov_b32 s8, -1
                                        ; implicit-def: $vgpr70
                                        ; implicit-def: $vgpr68_vgpr69
	s_and_saveexec_b32 s4, s5
	s_xor_b32 s22, exec_lo, s4
	s_cbranch_execz .LBB6_44
; %bb.14:
	flat_load_dword v1, v[44:45]
	s_mov_b32 s4, 0
	s_mov_b32 s5, -1
	s_mov_b32 s6, s54
	s_mov_b32 s23, exec_lo
                                        ; implicit-def: $vgpr70
                                        ; implicit-def: $vgpr68_vgpr69
	s_waitcnt vmcnt(0) lgkmcnt(0)
	v_add_nc_u32_e32 v5, v1, v0
	v_mov_b32_e32 v1, 0
	buffer_store_dword v1, off, s[0:3], s33 offset:108
	v_cmpx_gt_i32_e32 0x2001, v5
	s_cbranch_execz .LBB6_43
; %bb.15:
	v_ashrrev_i32_e32 v6, 31, v5
	v_lshlrev_b64 v[0:1], 2, v[0:1]
	flat_store_dword v[44:45], v5
	s_mov_b32 s5, 0
	s_mov_b32 s6, 0
	v_lshlrev_b64 v[6:7], 2, v[5:6]
	v_sub_co_u32 v2, vcc_lo, v6, v0
	v_sub_co_ci_u32_e64 v8, null, v7, v1, vcc_lo
	v_add_co_u32 v6, vcc_lo, v44, v6
	v_add_co_ci_u32_e64 v9, null, v45, v7, vcc_lo
	v_add_co_u32 v2, vcc_lo, v44, v2
	v_add_co_ci_u32_e64 v10, null, v45, v8, vcc_lo
	v_sub_co_u32 v7, vcc_lo, v6, v0
	v_sub_co_ci_u32_e64 v8, null, v9, v1, vcc_lo
	v_add_co_u32 v0, vcc_lo, v2, 4
	v_add_co_ci_u32_e64 v1, null, 0, v10, vcc_lo
	v_add_co_u32 v68, vcc_lo, v7, 4
	v_add_co_ci_u32_e64 v69, null, 0, v8, vcc_lo
	v_mov_b32_e32 v6, v1
	v_mov_b32_e32 v5, v0
	buffer_store_dword v68, off, s[0:3], s33 offset:112
	buffer_store_dword v69, off, s[0:3], s33 offset:116
	.p2align	6
.LBB6_16:                               ; =>This Inner Loop Header: Depth=1
	flat_load_dword v2, v[3:4]
	s_add_i32 s6, s6, 1
	v_add_co_u32 v3, vcc_lo, v3, 4
	v_add_co_ci_u32_e64 v4, null, 0, v4, vcc_lo
	s_waitcnt vmcnt(0) lgkmcnt(0)
	flat_store_dword v[5:6], v2
	flat_load_dword v9, v[52:53] offset:4
	v_add_co_u32 v5, s4, v5, 4
	v_mov_b32_e32 v2, s6
	v_add_co_ci_u32_e64 v6, null, 0, v6, s4
	s_waitcnt vmcnt(0) lgkmcnt(0)
	v_cmp_ge_i32_e32 vcc_lo, s6, v9
	s_or_b32 s5, vcc_lo, s5
	s_andn2_b32 exec_lo, exec_lo, s5
	s_cbranch_execnz .LBB6_16
; %bb.17:
	s_or_b32 exec_lo, exec_lo, s5
	s_mov_b32 s8, 0
                                        ; implicit-def: $sgpr7
	s_branch .LBB6_20
.LBB6_18:                               ;   in Loop: Header=BB6_20 Depth=1
	s_or_b32 exec_lo, exec_lo, s6
	s_xor_b32 s5, exec_lo, -1
.LBB6_19:                               ;   in Loop: Header=BB6_20 Depth=1
	s_or_b32 exec_lo, exec_lo, s9
	s_and_b32 s4, exec_lo, s5
	s_or_b32 s8, s4, s8
	s_andn2_b32 s4, s7, exec_lo
	s_and_b32 s5, vcc_lo, exec_lo
	s_or_b32 s7, s4, s5
	s_andn2_b32 exec_lo, exec_lo, s8
	s_cbranch_execz .LBB6_40
.LBB6_20:                               ; =>This Loop Header: Depth=1
                                        ;     Child Loop BB6_22 Depth 2
                                        ;       Child Loop BB6_24 Depth 3
                                        ;     Child Loop BB6_30 Depth 2
                                        ;     Child Loop BB6_35 Depth 2
	;; [unrolled: 1-line block ×3, first 2 shown]
	v_mov_b32_e32 v70, v2
	v_mov_b32_e32 v4, -1
	v_mov_b32_e32 v5, 0xf4240
	s_mov_b32 s9, 0
	s_mov_b32 s10, 0
	v_cmp_lt_i32_e64 s4, 0, v70
	v_cmp_gt_i32_e32 vcc_lo, 1, v70
	s_inst_prefetch 0x1
	s_branch .LBB6_22
	.p2align	6
.LBB6_21:                               ;   in Loop: Header=BB6_22 Depth=2
	s_or_b32 exec_lo, exec_lo, s11
	v_cmp_lt_u32_e64 s5, 1, v6
	v_cmp_gt_i32_e64 s6, v5, v6
	s_and_b32 s5, s5, s6
	v_cndmask_b32_e64 v4, v4, s10, s5
	s_add_i32 s10, s10, 1
	v_cndmask_b32_e64 v5, v5, v6, s5
	v_cmp_eq_u32_e64 s6, s10, v47
	s_or_b32 s9, s6, s9
	s_andn2_b32 exec_lo, exec_lo, s9
	s_cbranch_execz .LBB6_26
.LBB6_22:                               ;   Parent Loop BB6_20 Depth=1
                                        ; =>  This Loop Header: Depth=2
                                        ;       Child Loop BB6_24 Depth 3
	v_mov_b32_e32 v6, 0
	s_and_saveexec_b32 s11, s4
	s_cbranch_execz .LBB6_21
; %bb.23:                               ;   in Loop: Header=BB6_22 Depth=2
	v_mov_b32_e32 v3, v1
	v_mov_b32_e32 v6, 0
	;; [unrolled: 1-line block ×4, first 2 shown]
	s_mov_b32 s12, 0
.LBB6_24:                               ;   Parent Loop BB6_20 Depth=1
                                        ;     Parent Loop BB6_22 Depth=2
                                        ; =>    This Inner Loop Header: Depth=3
	flat_load_dword v10, v[2:3]
	v_add_nc_u32_e32 v9, -1, v9
	v_add_co_u32 v2, s5, v2, 4
	v_add_co_ci_u32_e64 v3, null, 0, v3, s5
	v_cmp_eq_u32_e64 s6, 0, v9
	s_or_b32 s12, s6, s12
	s_waitcnt vmcnt(0) lgkmcnt(0)
	v_bfe_u32 v10, v10, s10, 1
	v_add_nc_u32_e32 v6, v10, v6
	s_andn2_b32 exec_lo, exec_lo, s12
	s_cbranch_execnz .LBB6_24
; %bb.25:                               ;   in Loop: Header=BB6_22 Depth=2
	s_or_b32 exec_lo, exec_lo, s12
	s_branch .LBB6_21
.LBB6_26:                               ;   in Loop: Header=BB6_20 Depth=1
	s_inst_prefetch 0x2
	s_or_b32 exec_lo, exec_lo, s9
	v_cmp_gt_i32_e64 s5, 0xf4240, v5
	v_cmp_ne_u32_e64 s6, -1, v4
                                        ; implicit-def: $vgpr2
	s_and_b32 s6, s5, s6
	s_mov_b32 s5, -1
	s_and_saveexec_b32 s9, s6
	s_cbranch_execz .LBB6_19
; %bb.27:                               ;   in Loop: Header=BB6_20 Depth=1
	v_mov_b32_e32 v2, 0
	s_and_saveexec_b32 s6, s4
	s_cbranch_execz .LBB6_33
; %bb.28:                               ;   in Loop: Header=BB6_20 Depth=1
	v_lshlrev_b32_e64 v6, v4, 1
	v_mov_b32_e32 v5, v1
	v_mov_b32_e32 v2, 0
	;; [unrolled: 1-line block ×3, first 2 shown]
	s_mov_b32 s10, 0
	v_not_b32_e32 v9, v6
	s_mov_b32 s11, 0
	s_inst_prefetch 0x1
	s_branch .LBB6_30
	.p2align	6
.LBB6_29:                               ;   in Loop: Header=BB6_30 Depth=2
	s_or_b32 exec_lo, exec_lo, s5
	s_add_i32 s11, s11, 1
	v_add_co_u32 v4, s5, v4, 4
	v_cmp_ge_i32_e64 s4, s11, v70
	v_add_co_ci_u32_e64 v5, null, 0, v5, s5
	s_or_b32 s10, s4, s10
	s_andn2_b32 exec_lo, exec_lo, s10
	s_cbranch_execz .LBB6_32
.LBB6_30:                               ;   Parent Loop BB6_20 Depth=1
                                        ; =>  This Inner Loop Header: Depth=2
	flat_load_dword v10, v[4:5]
	s_mov_b32 s5, exec_lo
	s_waitcnt vmcnt(0) lgkmcnt(0)
	v_and_b32_e32 v3, v10, v6
	v_cmpx_ne_u32_e32 0, v3
	s_cbranch_execz .LBB6_29
; %bb.31:                               ;   in Loop: Header=BB6_30 Depth=2
	v_ashrrev_i32_e32 v3, 31, v2
	v_lshlrev_b64 v[11:12], 2, v[2:3]
	v_and_b32_e32 v3, v10, v9
	v_add_nc_u32_e32 v2, 1, v2
	v_add_co_u32 v10, s4, v7, v11
	v_add_co_ci_u32_e64 v11, null, v8, v12, s4
	flat_store_dword v[10:11], v3 offset:4
	s_branch .LBB6_29
.LBB6_32:                               ;   in Loop: Header=BB6_20 Depth=1
	s_inst_prefetch 0x2
	s_or_b32 exec_lo, exec_lo, s10
.LBB6_33:                               ;   in Loop: Header=BB6_20 Depth=1
	s_or_b32 exec_lo, exec_lo, s6
	v_cmp_gt_i32_e64 s4, 1, v2
	v_mov_b32_e32 v5, -1
	s_mov_b32 s10, exec_lo
	v_cmpx_lt_i32_e32 0, v2
	s_cbranch_execz .LBB6_37
; %bb.34:                               ;   in Loop: Header=BB6_20 Depth=1
	v_mov_b32_e32 v4, v1
	v_mov_b32_e32 v5, -1
	v_mov_b32_e32 v3, v0
	v_mov_b32_e32 v6, v2
	s_mov_b32 s11, 0
.LBB6_35:                               ;   Parent Loop BB6_20 Depth=1
                                        ; =>  This Inner Loop Header: Depth=2
	flat_load_dword v9, v[3:4]
	v_add_nc_u32_e32 v6, -1, v6
	v_add_co_u32 v3, s5, v3, 4
	v_add_co_ci_u32_e64 v4, null, 0, v4, s5
	v_cmp_eq_u32_e64 s6, 0, v6
	s_or_b32 s11, s6, s11
	s_waitcnt vmcnt(0) lgkmcnt(0)
	v_and_b32_e32 v5, v9, v5
	s_andn2_b32 exec_lo, exec_lo, s11
	s_cbranch_execnz .LBB6_35
; %bb.36:                               ;   in Loop: Header=BB6_20 Depth=1
	s_or_b32 exec_lo, exec_lo, s11
.LBB6_37:                               ;   in Loop: Header=BB6_20 Depth=1
	s_or_b32 exec_lo, exec_lo, s10
	v_cmp_ne_u32_e64 s5, 0, v5
	s_xor_b32 s4, s4, -1
	s_and_b32 s4, s4, s5
	s_and_saveexec_b32 s6, s4
	s_cbranch_execz .LBB6_18
; %bb.38:                               ;   in Loop: Header=BB6_20 Depth=1
	v_mov_b32_e32 v4, v1
	v_not_b32_e32 v5, v5
	v_mov_b32_e32 v3, v0
	v_mov_b32_e32 v6, v2
	s_mov_b32 s10, 0
.LBB6_39:                               ;   Parent Loop BB6_20 Depth=1
                                        ; =>  This Inner Loop Header: Depth=2
	flat_load_dword v9, v[3:4]
	v_add_nc_u32_e32 v6, -1, v6
	v_cmp_eq_u32_e64 s4, 0, v6
	s_or_b32 s10, s4, s10
	s_waitcnt vmcnt(0) lgkmcnt(0)
	v_and_b32_e32 v9, v9, v5
	flat_store_dword v[3:4], v9
	v_add_co_u32 v3, s5, v3, 4
	v_add_co_ci_u32_e64 v4, null, 0, v4, s5
	s_andn2_b32 exec_lo, exec_lo, s10
	s_cbranch_execnz .LBB6_39
	s_branch .LBB6_18
.LBB6_40:
	s_or_b32 exec_lo, exec_lo, s8
	s_mov_b32 s4, -1
	s_mov_b32 s5, s54
	buffer_store_dword v70, off, s[0:3], s33 offset:108
	s_and_saveexec_b32 s24, s7
	s_cbranch_execz .LBB6_42
; %bb.41:
	s_getpc_b64 s[4:5]
	s_add_u32 s4, s4, .str.35@rel32@lo+4
	s_addc_u32 s5, s5, .str.35@rel32@hi+12
	s_getpc_b64 s[6:7]
	s_add_u32 s6, s6, .str.31@rel32@lo+4
	s_addc_u32 s7, s7, .str.31@rel32@hi+12
	s_getpc_b64 s[8:9]
	s_add_u32 s8, s8, __PRETTY_FUNCTION__._ZN3sop10sopDivisorEPNS_3SopES1_iP7VecsMemIjLi8192EE@rel32@lo+4
	s_addc_u32 s9, s9, __PRETTY_FUNCTION__._ZN3sop10sopDivisorEPNS_3SopES1_iP7VecsMemIjLi8192EE@rel32@hi+12
	v_mov_b32_e32 v0, s4
	v_mov_b32_e32 v1, s5
	;; [unrolled: 1-line block ×7, first 2 shown]
	s_getpc_b64 s[10:11]
	s_add_u32 s10, s10, __assert_fail@rel32@lo+4
	s_addc_u32 s11, s11, __assert_fail@rel32@hi+12
	s_mov_b64 s[8:9], s[52:53]
	s_swappc_b64 s[30:31], s[10:11]
	s_or_b32 s5, s54, exec_lo
	s_xor_b32 s4, exec_lo, -1
.LBB6_42:
	s_or_b32 exec_lo, exec_lo, s24
	s_andn2_b32 s6, s54, exec_lo
	s_and_b32 s5, s5, exec_lo
	s_and_b32 s4, s4, exec_lo
	s_or_b32 s6, s6, s5
	s_xor_b32 s5, exec_lo, -1
.LBB6_43:
	s_or_b32 exec_lo, exec_lo, s23
	s_andn2_b32 s7, s54, exec_lo
	s_and_b32 s6, s6, exec_lo
	s_orn2_b32 s8, s5, exec_lo
	s_or_b32 s9, s7, s6
	s_and_b32 s6, s5, exec_lo
	s_orn2_b32 s7, s4, exec_lo
.LBB6_44:
	s_or_b32 exec_lo, exec_lo, s22
	s_andn2_b32 s5, s54, exec_lo
	s_and_b32 s9, s9, exec_lo
	s_orn2_b32 s4, s8, exec_lo
	s_or_b32 s64, s5, s9
	s_and_b32 s65, s6, exec_lo
	s_orn2_b32 s5, s7, exec_lo
.LBB6_45:
	s_or_b32 exec_lo, exec_lo, s21
                                        ; implicit-def: $vgpr41
	s_and_saveexec_b32 s66, s5
	s_cbranch_execz .LBB6_2773
; %bb.46:
	s_xor_b32 s4, s4, -1
	s_mov_b32 s67, s64
                                        ; implicit-def: $vgpr41
	s_and_saveexec_b32 s5, s4
	s_xor_b32 s24, exec_lo, s5
	s_cbranch_execz .LBB6_2770
; %bb.47:
	flat_load_dword v56, v[52:53] offset:4
	s_mov_b32 s21, s64
                                        ; implicit-def: $vgpr41
	s_mov_b32 s4, exec_lo
	s_waitcnt vmcnt(0) lgkmcnt(0)
	v_cmpx_ge_i32_e64 v56, v70
	s_xor_b32 s25, exec_lo, s4
	s_cbranch_execz .LBB6_2767
; %bb.48:
	s_mov_b32 s26, 0
	s_mov_b32 s5, 0
	;; [unrolled: 1-line block ×3, first 2 shown]
                                        ; implicit-def: $vgpr66
                                        ; implicit-def: $vgpr64_vgpr65
                                        ; implicit-def: $vgpr54_vgpr55
	s_mov_b32 s4, exec_lo
	v_cmpx_ne_u32_e32 1, v70
	s_xor_b32 s21, exec_lo, s4
	s_cbranch_execnz .LBB6_51
; %bb.49:
	s_or_saveexec_b32 s6, s21
	s_mov_b32 s29, 0
	s_xor_b32 exec_lo, exec_lo, s6
	s_cbranch_execnz .LBB6_399
.LBB6_50:
	s_or_b32 exec_lo, exec_lo, s6
                                        ; implicit-def: $vgpr41
	s_and_saveexec_b32 s40, s5
	s_cbranch_execnz .LBB6_410
	s_branch .LBB6_2494
.LBB6_51:
	v_cvt_f32_u32_e32 v0, v70
	v_sub_nc_u32_e32 v1, 0, v70
	v_mov_b32_e32 v64, 0
	v_mov_b32_e32 v65, 0
	s_mov_b32 s5, -1
	v_rcp_iflag_f32_e32 v0, v0
	s_mov_b32 s22, s64
	s_mov_b32 s23, exec_lo
	v_mul_f32_e32 v0, 0x4f7ffffe, v0
	v_cvt_u32_f32_e32 v0, v0
	v_mul_lo_u32 v1, v1, v0
	v_mul_hi_u32 v1, v0, v1
	v_add_nc_u32_e32 v0, v0, v1
	v_mul_hi_u32 v0, v56, v0
	v_mul_lo_u32 v1, v0, v70
	v_add_nc_u32_e32 v2, 1, v0
	v_sub_nc_u32_e32 v1, v56, v1
	v_sub_nc_u32_e32 v3, v1, v70
	v_cmp_ge_u32_e32 vcc_lo, v1, v70
	v_cndmask_b32_e32 v0, v0, v2, vcc_lo
	v_cndmask_b32_e32 v1, v1, v3, vcc_lo
	v_add_nc_u32_e32 v2, 1, v0
	v_cmp_ge_u32_e32 vcc_lo, v1, v70
	v_mov_b32_e32 v1, 0
	v_cndmask_b32_e32 v0, v0, v2, vcc_lo
	buffer_store_dword v1, off, s[0:3], s33 offset:124
	v_cmpx_lt_i32_e32 0, v0
	s_cbranch_execz .LBB6_191
; %bb.52:
	flat_load_dword v1, v[44:45]
	v_mov_b32_e32 v64, 0
	v_mov_b32_e32 v65, 0
	s_mov_b32 s27, 0
	s_mov_b32 s4, exec_lo
	s_waitcnt vmcnt(0) lgkmcnt(0)
	v_add_nc_u32_e32 v2, v1, v0
	v_cmpx_gt_i32_e32 0x2001, v2
	s_xor_b32 s4, exec_lo, s4
	s_cbranch_execz .LBB6_54
; %bb.53:
	v_ashrrev_i32_e32 v3, 31, v2
	v_mov_b32_e32 v1, 0
	s_mov_b32 s27, exec_lo
	flat_store_dword v[44:45], v2
	v_lshlrev_b64 v[3:4], 2, v[2:3]
	v_lshlrev_b64 v[0:1], 2, v[0:1]
	v_add_co_u32 v3, vcc_lo, v44, v3
	v_add_co_ci_u32_e64 v4, null, v45, v4, vcc_lo
	v_sub_co_u32 v0, vcc_lo, v3, v0
	v_sub_co_ci_u32_e64 v1, null, v4, v1, vcc_lo
	v_add_co_u32 v64, vcc_lo, v0, 4
	v_add_co_ci_u32_e64 v65, null, 0, v1, vcc_lo
.LBB6_54:
	s_or_saveexec_b32 s22, s4
	s_mov_b32 s4, s64
	s_xor_b32 exec_lo, exec_lo, s22
	s_cbranch_execz .LBB6_190
; %bb.55:
	s_load_dwordx2 s[6:7], s[52:53], 0x50
	v_mbcnt_lo_u32_b32 v29, -1, 0
	v_mov_b32_e32 v6, 0
	v_mov_b32_e32 v7, 0
	v_readfirstlane_b32 s4, v29
	v_cmp_eq_u32_e64 s4, s4, v29
	s_and_saveexec_b32 s5, s4
	s_cbranch_execz .LBB6_61
; %bb.56:
	v_mov_b32_e32 v0, 0
	s_mov_b32 s8, exec_lo
	s_waitcnt lgkmcnt(0)
	global_load_dwordx2 v[3:4], v0, s[6:7] offset:24 glc dlc
	s_waitcnt vmcnt(0)
	buffer_gl1_inv
	buffer_gl0_inv
	s_clause 0x1
	global_load_dwordx2 v[1:2], v0, s[6:7] offset:40
	global_load_dwordx2 v[5:6], v0, s[6:7]
	s_waitcnt vmcnt(1)
	v_and_b32_e32 v2, v2, v4
	v_and_b32_e32 v1, v1, v3
	v_mul_lo_u32 v2, v2, 24
	v_mul_hi_u32 v7, v1, 24
	v_mul_lo_u32 v1, v1, 24
	v_add_nc_u32_e32 v2, v7, v2
	s_waitcnt vmcnt(0)
	v_add_co_u32 v1, vcc_lo, v5, v1
	v_add_co_ci_u32_e64 v2, null, v6, v2, vcc_lo
	global_load_dwordx2 v[1:2], v[1:2], off glc dlc
	s_waitcnt vmcnt(0)
	global_atomic_cmpswap_x2 v[6:7], v0, v[1:4], s[6:7] offset:24 glc
	s_waitcnt vmcnt(0)
	buffer_gl1_inv
	buffer_gl0_inv
	v_cmpx_ne_u64_e64 v[6:7], v[3:4]
	s_cbranch_execz .LBB6_60
; %bb.57:
	s_mov_b32 s9, 0
.LBB6_58:                               ; =>This Inner Loop Header: Depth=1
	s_sleep 1
	s_clause 0x1
	global_load_dwordx2 v[1:2], v0, s[6:7] offset:40
	global_load_dwordx2 v[8:9], v0, s[6:7]
	v_mov_b32_e32 v3, v6
	v_mov_b32_e32 v4, v7
	s_waitcnt vmcnt(1)
	v_and_b32_e32 v1, v1, v3
	v_and_b32_e32 v2, v2, v4
	s_waitcnt vmcnt(0)
	v_mad_u64_u32 v[5:6], null, v1, 24, v[8:9]
	v_mov_b32_e32 v1, v6
	v_mad_u64_u32 v[1:2], null, v2, 24, v[1:2]
	v_mov_b32_e32 v6, v1
	global_load_dwordx2 v[1:2], v[5:6], off glc dlc
	s_waitcnt vmcnt(0)
	global_atomic_cmpswap_x2 v[6:7], v0, v[1:4], s[6:7] offset:24 glc
	s_waitcnt vmcnt(0)
	buffer_gl1_inv
	buffer_gl0_inv
	v_cmp_eq_u64_e32 vcc_lo, v[6:7], v[3:4]
	s_or_b32 s9, vcc_lo, s9
	s_andn2_b32 exec_lo, exec_lo, s9
	s_cbranch_execnz .LBB6_58
; %bb.59:
	s_or_b32 exec_lo, exec_lo, s9
.LBB6_60:
	s_or_b32 exec_lo, exec_lo, s8
.LBB6_61:
	s_or_b32 exec_lo, exec_lo, s5
	v_mov_b32_e32 v5, 0
	v_readfirstlane_b32 s9, v7
	v_readfirstlane_b32 s8, v6
	s_mov_b32 s5, exec_lo
	s_waitcnt lgkmcnt(0)
	s_clause 0x1
	global_load_dwordx2 v[8:9], v5, s[6:7] offset:40
	global_load_dwordx4 v[0:3], v5, s[6:7]
	s_waitcnt vmcnt(1)
	v_readfirstlane_b32 s10, v8
	v_readfirstlane_b32 s11, v9
	s_and_b64 s[10:11], s[10:11], s[8:9]
	s_mul_i32 s12, s11, 24
	s_mul_hi_u32 s13, s10, 24
	s_mul_i32 s14, s10, 24
	s_add_i32 s13, s13, s12
	s_waitcnt vmcnt(0)
	v_add_co_u32 v8, vcc_lo, v0, s14
	v_add_co_ci_u32_e64 v9, null, s13, v1, vcc_lo
	s_and_saveexec_b32 s12, s4
	s_cbranch_execz .LBB6_63
; %bb.62:
	v_mov_b32_e32 v4, s5
	v_mov_b32_e32 v6, 2
	;; [unrolled: 1-line block ×3, first 2 shown]
	global_store_dwordx4 v[8:9], v[4:7], off offset:8
.LBB6_63:
	s_or_b32 exec_lo, exec_lo, s12
	s_lshl_b64 s[10:11], s[10:11], 12
	v_lshlrev_b32_e32 v28, 6, v29
	v_add_co_u32 v2, vcc_lo, v2, s10
	v_add_co_ci_u32_e64 v3, null, s11, v3, vcc_lo
	s_mov_b32 s12, 0
	v_add_co_u32 v10, vcc_lo, v2, v28
	s_mov_b32 s13, s12
	s_mov_b32 s14, s12
	;; [unrolled: 1-line block ×3, first 2 shown]
	v_mov_b32_e32 v4, 33
	v_mov_b32_e32 v6, v5
	;; [unrolled: 1-line block ×3, first 2 shown]
	v_readfirstlane_b32 s10, v2
	v_readfirstlane_b32 s11, v3
	v_mov_b32_e32 v12, s12
	v_add_co_ci_u32_e64 v11, null, 0, v3, vcc_lo
	v_mov_b32_e32 v13, s13
	v_mov_b32_e32 v14, s14
	;; [unrolled: 1-line block ×3, first 2 shown]
	global_store_dwordx4 v28, v[4:7], s[10:11]
	global_store_dwordx4 v28, v[12:15], s[10:11] offset:16
	global_store_dwordx4 v28, v[12:15], s[10:11] offset:32
	;; [unrolled: 1-line block ×3, first 2 shown]
	s_and_saveexec_b32 s5, s4
	s_cbranch_execz .LBB6_71
; %bb.64:
	v_mov_b32_e32 v6, 0
	v_mov_b32_e32 v12, s8
	v_mov_b32_e32 v13, s9
	s_mov_b32 s10, exec_lo
	s_clause 0x1
	global_load_dwordx2 v[14:15], v6, s[6:7] offset:32 glc dlc
	global_load_dwordx2 v[2:3], v6, s[6:7] offset:40
	s_waitcnt vmcnt(0)
	v_and_b32_e32 v3, s9, v3
	v_and_b32_e32 v2, s8, v2
	v_mul_lo_u32 v3, v3, 24
	v_mul_hi_u32 v4, v2, 24
	v_mul_lo_u32 v2, v2, 24
	v_add_nc_u32_e32 v3, v4, v3
	v_add_co_u32 v4, vcc_lo, v0, v2
	v_add_co_ci_u32_e64 v5, null, v1, v3, vcc_lo
	global_store_dwordx2 v[4:5], v[14:15], off
	s_waitcnt_vscnt null, 0x0
	global_atomic_cmpswap_x2 v[2:3], v6, v[12:15], s[6:7] offset:32 glc
	s_waitcnt vmcnt(0)
	v_cmpx_ne_u64_e64 v[2:3], v[14:15]
	s_cbranch_execz .LBB6_67
; %bb.65:
	s_mov_b32 s11, 0
.LBB6_66:                               ; =>This Inner Loop Header: Depth=1
	v_mov_b32_e32 v0, s8
	v_mov_b32_e32 v1, s9
	s_sleep 1
	global_store_dwordx2 v[4:5], v[2:3], off
	s_waitcnt_vscnt null, 0x0
	global_atomic_cmpswap_x2 v[0:1], v6, v[0:3], s[6:7] offset:32 glc
	s_waitcnt vmcnt(0)
	v_cmp_eq_u64_e32 vcc_lo, v[0:1], v[2:3]
	v_mov_b32_e32 v3, v1
	v_mov_b32_e32 v2, v0
	s_or_b32 s11, vcc_lo, s11
	s_andn2_b32 exec_lo, exec_lo, s11
	s_cbranch_execnz .LBB6_66
.LBB6_67:
	s_or_b32 exec_lo, exec_lo, s10
	v_mov_b32_e32 v3, 0
	s_mov_b32 s11, exec_lo
	s_mov_b32 s10, exec_lo
	v_mbcnt_lo_u32_b32 v2, s11, 0
	global_load_dwordx2 v[0:1], v3, s[6:7] offset:16
	v_cmpx_eq_u32_e32 0, v2
	s_cbranch_execz .LBB6_69
; %bb.68:
	s_bcnt1_i32_b32 s11, s11
	v_mov_b32_e32 v2, s11
	s_waitcnt vmcnt(0)
	global_atomic_add_x2 v[0:1], v[2:3], off offset:8
.LBB6_69:
	s_or_b32 exec_lo, exec_lo, s10
	s_waitcnt vmcnt(0)
	global_load_dwordx2 v[2:3], v[0:1], off offset:16
	s_waitcnt vmcnt(0)
	v_cmp_eq_u64_e32 vcc_lo, 0, v[2:3]
	s_cbranch_vccnz .LBB6_71
; %bb.70:
	global_load_dword v0, v[0:1], off offset:24
	v_mov_b32_e32 v1, 0
	s_waitcnt vmcnt(0)
	v_readfirstlane_b32 s10, v0
	s_waitcnt_vscnt null, 0x0
	global_store_dwordx2 v[2:3], v[0:1], off
	s_and_b32 m0, s10, 0x7fffff
	s_sendmsg sendmsg(MSG_INTERRUPT)
.LBB6_71:
	s_or_b32 exec_lo, exec_lo, s5
	s_branch .LBB6_75
	.p2align	6
.LBB6_72:                               ;   in Loop: Header=BB6_75 Depth=1
	s_or_b32 exec_lo, exec_lo, s5
	v_readfirstlane_b32 s5, v0
	s_cmp_eq_u32 s5, 0
	s_cbranch_scc1 .LBB6_74
; %bb.73:                               ;   in Loop: Header=BB6_75 Depth=1
	s_sleep 1
	s_cbranch_execnz .LBB6_75
	s_branch .LBB6_77
.LBB6_74:
	s_branch .LBB6_77
.LBB6_75:                               ; =>This Inner Loop Header: Depth=1
	v_mov_b32_e32 v0, 1
	s_and_saveexec_b32 s5, s4
	s_cbranch_execz .LBB6_72
; %bb.76:                               ;   in Loop: Header=BB6_75 Depth=1
	global_load_dword v0, v[8:9], off offset:20 glc dlc
	s_waitcnt vmcnt(0)
	buffer_gl1_inv
	buffer_gl0_inv
	v_and_b32_e32 v0, 1, v0
	s_branch .LBB6_72
.LBB6_77:
	global_load_dwordx2 v[0:1], v[10:11], off
	s_and_saveexec_b32 s10, s4
	s_cbranch_execz .LBB6_81
; %bb.78:
	v_mov_b32_e32 v8, 0
	s_clause 0x2
	global_load_dwordx2 v[2:3], v8, s[6:7] offset:40
	global_load_dwordx2 v[11:12], v8, s[6:7] offset:24 glc dlc
	global_load_dwordx2 v[4:5], v8, s[6:7]
	s_waitcnt vmcnt(2)
	v_readfirstlane_b32 s12, v2
	v_readfirstlane_b32 s13, v3
	s_add_u32 s11, s12, 1
	s_addc_u32 s14, s13, 0
	s_add_u32 s4, s11, s8
	s_addc_u32 s5, s14, s9
	s_cmp_eq_u64 s[4:5], 0
	s_cselect_b32 s5, s14, s5
	s_cselect_b32 s4, s11, s4
	v_mov_b32_e32 v10, s5
	s_and_b64 s[8:9], s[4:5], s[12:13]
	v_mov_b32_e32 v9, s4
	s_mul_i32 s9, s9, 24
	s_mul_hi_u32 s11, s8, 24
	s_mul_i32 s8, s8, 24
	s_add_i32 s11, s11, s9
	s_waitcnt vmcnt(0)
	v_add_co_u32 v6, vcc_lo, v4, s8
	v_add_co_ci_u32_e64 v7, null, s11, v5, vcc_lo
	global_store_dwordx2 v[6:7], v[11:12], off
	s_waitcnt_vscnt null, 0x0
	global_atomic_cmpswap_x2 v[4:5], v8, v[9:12], s[6:7] offset:24 glc
	s_waitcnt vmcnt(0)
	v_cmp_ne_u64_e32 vcc_lo, v[4:5], v[11:12]
	s_and_b32 exec_lo, exec_lo, vcc_lo
	s_cbranch_execz .LBB6_81
; %bb.79:
	s_mov_b32 s8, 0
.LBB6_80:                               ; =>This Inner Loop Header: Depth=1
	v_mov_b32_e32 v2, s4
	v_mov_b32_e32 v3, s5
	s_sleep 1
	global_store_dwordx2 v[6:7], v[4:5], off
	s_waitcnt_vscnt null, 0x0
	global_atomic_cmpswap_x2 v[2:3], v8, v[2:5], s[6:7] offset:24 glc
	s_waitcnt vmcnt(0)
	v_cmp_eq_u64_e32 vcc_lo, v[2:3], v[4:5]
	v_mov_b32_e32 v5, v3
	v_mov_b32_e32 v4, v2
	s_or_b32 s8, vcc_lo, s8
	s_andn2_b32 exec_lo, exec_lo, s8
	s_cbranch_execnz .LBB6_80
.LBB6_81:
	s_or_b32 exec_lo, exec_lo, s10
	s_getpc_b64 s[8:9]
	s_add_u32 s8, s8, .str.28@rel32@lo+4
	s_addc_u32 s9, s9, .str.28@rel32@hi+12
	s_cmp_lg_u64 s[8:9], 0
	s_cbranch_scc0 .LBB6_160
; %bb.82:
	s_waitcnt vmcnt(0)
	v_and_b32_e32 v6, -3, v0
	v_mov_b32_e32 v7, v1
	v_mov_b32_e32 v3, 0
	;; [unrolled: 1-line block ×4, first 2 shown]
	s_mov_b64 s[10:11], 35
	s_branch .LBB6_84
.LBB6_83:                               ;   in Loop: Header=BB6_84 Depth=1
	s_or_b32 exec_lo, exec_lo, s16
	s_sub_u32 s10, s10, s12
	s_subb_u32 s11, s11, s13
	s_add_u32 s8, s8, s12
	s_addc_u32 s9, s9, s13
	s_cmp_lg_u64 s[10:11], 0
	s_cbranch_scc0 .LBB6_159
.LBB6_84:                               ; =>This Loop Header: Depth=1
                                        ;     Child Loop BB6_87 Depth 2
                                        ;     Child Loop BB6_94 Depth 2
	;; [unrolled: 1-line block ×11, first 2 shown]
	v_cmp_lt_u64_e64 s4, s[10:11], 56
	v_cmp_gt_u64_e64 s14, s[10:11], 7
	s_and_b32 s4, s4, exec_lo
	s_cselect_b32 s13, s11, 0
	s_cselect_b32 s12, s10, 56
	s_add_u32 s4, s8, 8
	s_addc_u32 s5, s9, 0
	s_and_b32 vcc_lo, exec_lo, s14
	s_cbranch_vccnz .LBB6_89
; %bb.85:                               ;   in Loop: Header=BB6_84 Depth=1
	s_waitcnt vmcnt(0)
	v_mov_b32_e32 v8, 0
	v_mov_b32_e32 v9, 0
	s_cmp_eq_u64 s[10:11], 0
	s_cbranch_scc1 .LBB6_88
; %bb.86:                               ;   in Loop: Header=BB6_84 Depth=1
	s_lshl_b64 s[4:5], s[12:13], 3
	s_mov_b64 s[14:15], 0
	s_mov_b64 s[16:17], s[8:9]
.LBB6_87:                               ;   Parent Loop BB6_84 Depth=1
                                        ; =>  This Inner Loop Header: Depth=2
	global_load_ubyte v2, v3, s[16:17]
	s_waitcnt vmcnt(0)
	v_and_b32_e32 v2, 0xffff, v2
	v_lshlrev_b64 v[10:11], s14, v[2:3]
	s_add_u32 s14, s14, 8
	s_addc_u32 s15, s15, 0
	s_add_u32 s16, s16, 1
	s_addc_u32 s17, s17, 0
	s_cmp_lg_u32 s4, s14
	v_or_b32_e32 v8, v10, v8
	v_or_b32_e32 v9, v11, v9
	s_cbranch_scc1 .LBB6_87
.LBB6_88:                               ;   in Loop: Header=BB6_84 Depth=1
	s_mov_b64 s[4:5], s[8:9]
	s_mov_b32 s18, 0
	s_cbranch_execz .LBB6_90
	s_branch .LBB6_91
.LBB6_89:                               ;   in Loop: Header=BB6_84 Depth=1
	s_mov_b32 s18, 0
.LBB6_90:                               ;   in Loop: Header=BB6_84 Depth=1
	global_load_dwordx2 v[8:9], v3, s[8:9]
	s_add_i32 s18, s12, -8
.LBB6_91:                               ;   in Loop: Header=BB6_84 Depth=1
	s_add_u32 s14, s4, 8
	s_addc_u32 s15, s5, 0
	s_cmp_gt_u32 s18, 7
	s_cbranch_scc1 .LBB6_96
; %bb.92:                               ;   in Loop: Header=BB6_84 Depth=1
	v_mov_b32_e32 v10, 0
	v_mov_b32_e32 v11, 0
	s_cmp_eq_u32 s18, 0
	s_cbranch_scc1 .LBB6_95
; %bb.93:                               ;   in Loop: Header=BB6_84 Depth=1
	s_mov_b64 s[14:15], 0
	s_mov_b64 s[16:17], 0
.LBB6_94:                               ;   Parent Loop BB6_84 Depth=1
                                        ; =>  This Inner Loop Header: Depth=2
	s_add_u32 s28, s4, s16
	s_addc_u32 s29, s5, s17
	s_add_u32 s16, s16, 1
	global_load_ubyte v2, v3, s[28:29]
	s_addc_u32 s17, s17, 0
	s_waitcnt vmcnt(0)
	v_and_b32_e32 v2, 0xffff, v2
	v_lshlrev_b64 v[12:13], s14, v[2:3]
	s_add_u32 s14, s14, 8
	s_addc_u32 s15, s15, 0
	s_cmp_lg_u32 s18, s16
	v_or_b32_e32 v10, v12, v10
	v_or_b32_e32 v11, v13, v11
	s_cbranch_scc1 .LBB6_94
.LBB6_95:                               ;   in Loop: Header=BB6_84 Depth=1
	s_mov_b64 s[14:15], s[4:5]
	s_mov_b32 s19, 0
	s_cbranch_execz .LBB6_97
	s_branch .LBB6_98
.LBB6_96:                               ;   in Loop: Header=BB6_84 Depth=1
                                        ; implicit-def: $vgpr10_vgpr11
	s_mov_b32 s19, 0
.LBB6_97:                               ;   in Loop: Header=BB6_84 Depth=1
	global_load_dwordx2 v[10:11], v3, s[4:5]
	s_add_i32 s19, s18, -8
.LBB6_98:                               ;   in Loop: Header=BB6_84 Depth=1
	s_add_u32 s4, s14, 8
	s_addc_u32 s5, s15, 0
	s_cmp_gt_u32 s19, 7
	s_cbranch_scc1 .LBB6_103
; %bb.99:                               ;   in Loop: Header=BB6_84 Depth=1
	v_mov_b32_e32 v12, 0
	v_mov_b32_e32 v13, 0
	s_cmp_eq_u32 s19, 0
	s_cbranch_scc1 .LBB6_102
; %bb.100:                              ;   in Loop: Header=BB6_84 Depth=1
	s_mov_b64 s[4:5], 0
	s_mov_b64 s[16:17], 0
.LBB6_101:                              ;   Parent Loop BB6_84 Depth=1
                                        ; =>  This Inner Loop Header: Depth=2
	s_add_u32 s28, s14, s16
	s_addc_u32 s29, s15, s17
	s_add_u32 s16, s16, 1
	global_load_ubyte v2, v3, s[28:29]
	s_addc_u32 s17, s17, 0
	s_waitcnt vmcnt(0)
	v_and_b32_e32 v2, 0xffff, v2
	v_lshlrev_b64 v[14:15], s4, v[2:3]
	s_add_u32 s4, s4, 8
	s_addc_u32 s5, s5, 0
	s_cmp_lg_u32 s19, s16
	v_or_b32_e32 v12, v14, v12
	v_or_b32_e32 v13, v15, v13
	s_cbranch_scc1 .LBB6_101
.LBB6_102:                              ;   in Loop: Header=BB6_84 Depth=1
	s_mov_b64 s[4:5], s[14:15]
	s_mov_b32 s18, 0
	s_cbranch_execz .LBB6_104
	s_branch .LBB6_105
.LBB6_103:                              ;   in Loop: Header=BB6_84 Depth=1
	s_mov_b32 s18, 0
.LBB6_104:                              ;   in Loop: Header=BB6_84 Depth=1
	global_load_dwordx2 v[12:13], v3, s[14:15]
	s_add_i32 s18, s19, -8
.LBB6_105:                              ;   in Loop: Header=BB6_84 Depth=1
	s_add_u32 s14, s4, 8
	s_addc_u32 s15, s5, 0
	s_cmp_gt_u32 s18, 7
	s_cbranch_scc1 .LBB6_110
; %bb.106:                              ;   in Loop: Header=BB6_84 Depth=1
	v_mov_b32_e32 v14, 0
	v_mov_b32_e32 v15, 0
	s_cmp_eq_u32 s18, 0
	s_cbranch_scc1 .LBB6_109
; %bb.107:                              ;   in Loop: Header=BB6_84 Depth=1
	s_mov_b64 s[14:15], 0
	s_mov_b64 s[16:17], 0
.LBB6_108:                              ;   Parent Loop BB6_84 Depth=1
                                        ; =>  This Inner Loop Header: Depth=2
	s_add_u32 s28, s4, s16
	s_addc_u32 s29, s5, s17
	s_add_u32 s16, s16, 1
	global_load_ubyte v2, v3, s[28:29]
	s_addc_u32 s17, s17, 0
	s_waitcnt vmcnt(0)
	v_and_b32_e32 v2, 0xffff, v2
	v_lshlrev_b64 v[16:17], s14, v[2:3]
	s_add_u32 s14, s14, 8
	s_addc_u32 s15, s15, 0
	s_cmp_lg_u32 s18, s16
	v_or_b32_e32 v14, v16, v14
	v_or_b32_e32 v15, v17, v15
	s_cbranch_scc1 .LBB6_108
.LBB6_109:                              ;   in Loop: Header=BB6_84 Depth=1
	s_mov_b64 s[14:15], s[4:5]
	s_mov_b32 s19, 0
	s_cbranch_execz .LBB6_111
	s_branch .LBB6_112
.LBB6_110:                              ;   in Loop: Header=BB6_84 Depth=1
                                        ; implicit-def: $vgpr14_vgpr15
	s_mov_b32 s19, 0
.LBB6_111:                              ;   in Loop: Header=BB6_84 Depth=1
	global_load_dwordx2 v[14:15], v3, s[4:5]
	s_add_i32 s19, s18, -8
.LBB6_112:                              ;   in Loop: Header=BB6_84 Depth=1
	s_add_u32 s4, s14, 8
	s_addc_u32 s5, s15, 0
	s_cmp_gt_u32 s19, 7
	s_cbranch_scc1 .LBB6_117
; %bb.113:                              ;   in Loop: Header=BB6_84 Depth=1
	v_mov_b32_e32 v16, 0
	v_mov_b32_e32 v17, 0
	s_cmp_eq_u32 s19, 0
	s_cbranch_scc1 .LBB6_116
; %bb.114:                              ;   in Loop: Header=BB6_84 Depth=1
	s_mov_b64 s[4:5], 0
	s_mov_b64 s[16:17], 0
.LBB6_115:                              ;   Parent Loop BB6_84 Depth=1
                                        ; =>  This Inner Loop Header: Depth=2
	s_add_u32 s28, s14, s16
	s_addc_u32 s29, s15, s17
	s_add_u32 s16, s16, 1
	global_load_ubyte v2, v3, s[28:29]
	s_addc_u32 s17, s17, 0
	s_waitcnt vmcnt(0)
	v_and_b32_e32 v2, 0xffff, v2
	v_lshlrev_b64 v[18:19], s4, v[2:3]
	s_add_u32 s4, s4, 8
	s_addc_u32 s5, s5, 0
	s_cmp_lg_u32 s19, s16
	v_or_b32_e32 v16, v18, v16
	v_or_b32_e32 v17, v19, v17
	s_cbranch_scc1 .LBB6_115
.LBB6_116:                              ;   in Loop: Header=BB6_84 Depth=1
	s_mov_b64 s[4:5], s[14:15]
	s_mov_b32 s18, 0
	s_cbranch_execz .LBB6_118
	s_branch .LBB6_119
.LBB6_117:                              ;   in Loop: Header=BB6_84 Depth=1
	s_mov_b32 s18, 0
.LBB6_118:                              ;   in Loop: Header=BB6_84 Depth=1
	global_load_dwordx2 v[16:17], v3, s[14:15]
	s_add_i32 s18, s19, -8
.LBB6_119:                              ;   in Loop: Header=BB6_84 Depth=1
	s_add_u32 s14, s4, 8
	s_addc_u32 s15, s5, 0
	s_cmp_gt_u32 s18, 7
	s_cbranch_scc1 .LBB6_124
; %bb.120:                              ;   in Loop: Header=BB6_84 Depth=1
	v_mov_b32_e32 v18, 0
	v_mov_b32_e32 v19, 0
	s_cmp_eq_u32 s18, 0
	s_cbranch_scc1 .LBB6_123
; %bb.121:                              ;   in Loop: Header=BB6_84 Depth=1
	s_mov_b64 s[14:15], 0
	s_mov_b64 s[16:17], 0
.LBB6_122:                              ;   Parent Loop BB6_84 Depth=1
                                        ; =>  This Inner Loop Header: Depth=2
	s_add_u32 s28, s4, s16
	s_addc_u32 s29, s5, s17
	s_add_u32 s16, s16, 1
	global_load_ubyte v2, v3, s[28:29]
	s_addc_u32 s17, s17, 0
	s_waitcnt vmcnt(0)
	v_and_b32_e32 v2, 0xffff, v2
	v_lshlrev_b64 v[20:21], s14, v[2:3]
	s_add_u32 s14, s14, 8
	s_addc_u32 s15, s15, 0
	s_cmp_lg_u32 s18, s16
	v_or_b32_e32 v18, v20, v18
	v_or_b32_e32 v19, v21, v19
	s_cbranch_scc1 .LBB6_122
.LBB6_123:                              ;   in Loop: Header=BB6_84 Depth=1
	s_mov_b64 s[14:15], s[4:5]
	s_mov_b32 s19, 0
	s_cbranch_execz .LBB6_125
	s_branch .LBB6_126
.LBB6_124:                              ;   in Loop: Header=BB6_84 Depth=1
                                        ; implicit-def: $vgpr18_vgpr19
	s_mov_b32 s19, 0
.LBB6_125:                              ;   in Loop: Header=BB6_84 Depth=1
	global_load_dwordx2 v[18:19], v3, s[4:5]
	s_add_i32 s19, s18, -8
.LBB6_126:                              ;   in Loop: Header=BB6_84 Depth=1
	s_cmp_gt_u32 s19, 7
	s_cbranch_scc1 .LBB6_131
; %bb.127:                              ;   in Loop: Header=BB6_84 Depth=1
	v_mov_b32_e32 v20, 0
	v_mov_b32_e32 v21, 0
	s_cmp_eq_u32 s19, 0
	s_cbranch_scc1 .LBB6_130
; %bb.128:                              ;   in Loop: Header=BB6_84 Depth=1
	s_mov_b64 s[4:5], 0
	s_mov_b64 s[16:17], s[14:15]
.LBB6_129:                              ;   Parent Loop BB6_84 Depth=1
                                        ; =>  This Inner Loop Header: Depth=2
	global_load_ubyte v2, v3, s[16:17]
	s_add_i32 s19, s19, -1
	s_waitcnt vmcnt(0)
	v_and_b32_e32 v2, 0xffff, v2
	v_lshlrev_b64 v[22:23], s4, v[2:3]
	s_add_u32 s4, s4, 8
	s_addc_u32 s5, s5, 0
	s_add_u32 s16, s16, 1
	s_addc_u32 s17, s17, 0
	s_cmp_lg_u32 s19, 0
	v_or_b32_e32 v20, v22, v20
	v_or_b32_e32 v21, v23, v21
	s_cbranch_scc1 .LBB6_129
.LBB6_130:                              ;   in Loop: Header=BB6_84 Depth=1
	s_cbranch_execz .LBB6_132
	s_branch .LBB6_133
.LBB6_131:                              ;   in Loop: Header=BB6_84 Depth=1
.LBB6_132:                              ;   in Loop: Header=BB6_84 Depth=1
	global_load_dwordx2 v[20:21], v3, s[14:15]
.LBB6_133:                              ;   in Loop: Header=BB6_84 Depth=1
	v_readfirstlane_b32 s4, v29
	v_mov_b32_e32 v26, 0
	v_mov_b32_e32 v27, 0
	v_cmp_eq_u32_e64 s4, s4, v29
	s_and_saveexec_b32 s5, s4
	s_cbranch_execz .LBB6_139
; %bb.134:                              ;   in Loop: Header=BB6_84 Depth=1
	global_load_dwordx2 v[24:25], v3, s[6:7] offset:24 glc dlc
	s_waitcnt vmcnt(0)
	buffer_gl1_inv
	buffer_gl0_inv
	s_clause 0x1
	global_load_dwordx2 v[22:23], v3, s[6:7] offset:40
	global_load_dwordx2 v[26:27], v3, s[6:7]
	s_mov_b32 s14, exec_lo
	s_waitcnt vmcnt(1)
	v_and_b32_e32 v2, v23, v25
	v_and_b32_e32 v22, v22, v24
	v_mul_lo_u32 v2, v2, 24
	v_mul_hi_u32 v23, v22, 24
	v_mul_lo_u32 v22, v22, 24
	v_add_nc_u32_e32 v2, v23, v2
	s_waitcnt vmcnt(0)
	v_add_co_u32 v22, vcc_lo, v26, v22
	v_add_co_ci_u32_e64 v23, null, v27, v2, vcc_lo
	global_load_dwordx2 v[22:23], v[22:23], off glc dlc
	s_waitcnt vmcnt(0)
	global_atomic_cmpswap_x2 v[26:27], v3, v[22:25], s[6:7] offset:24 glc
	s_waitcnt vmcnt(0)
	buffer_gl1_inv
	buffer_gl0_inv
	v_cmpx_ne_u64_e64 v[26:27], v[24:25]
	s_cbranch_execz .LBB6_138
; %bb.135:                              ;   in Loop: Header=BB6_84 Depth=1
	s_mov_b32 s15, 0
	.p2align	6
.LBB6_136:                              ;   Parent Loop BB6_84 Depth=1
                                        ; =>  This Inner Loop Header: Depth=2
	s_sleep 1
	s_clause 0x1
	global_load_dwordx2 v[22:23], v3, s[6:7] offset:40
	global_load_dwordx2 v[30:31], v3, s[6:7]
	v_mov_b32_e32 v24, v26
	v_mov_b32_e32 v25, v27
	s_waitcnt vmcnt(1)
	v_and_b32_e32 v2, v22, v24
	v_and_b32_e32 v22, v23, v25
	s_waitcnt vmcnt(0)
	v_mad_u64_u32 v[26:27], null, v2, 24, v[30:31]
	v_mov_b32_e32 v2, v27
	v_mad_u64_u32 v[22:23], null, v22, 24, v[2:3]
	v_mov_b32_e32 v27, v22
	global_load_dwordx2 v[22:23], v[26:27], off glc dlc
	s_waitcnt vmcnt(0)
	global_atomic_cmpswap_x2 v[26:27], v3, v[22:25], s[6:7] offset:24 glc
	s_waitcnt vmcnt(0)
	buffer_gl1_inv
	buffer_gl0_inv
	v_cmp_eq_u64_e32 vcc_lo, v[26:27], v[24:25]
	s_or_b32 s15, vcc_lo, s15
	s_andn2_b32 exec_lo, exec_lo, s15
	s_cbranch_execnz .LBB6_136
; %bb.137:                              ;   in Loop: Header=BB6_84 Depth=1
	s_or_b32 exec_lo, exec_lo, s15
.LBB6_138:                              ;   in Loop: Header=BB6_84 Depth=1
	s_or_b32 exec_lo, exec_lo, s14
.LBB6_139:                              ;   in Loop: Header=BB6_84 Depth=1
	s_or_b32 exec_lo, exec_lo, s5
	s_clause 0x1
	global_load_dwordx2 v[30:31], v3, s[6:7] offset:40
	global_load_dwordx4 v[22:25], v3, s[6:7]
	v_readfirstlane_b32 s15, v27
	v_readfirstlane_b32 s14, v26
	s_mov_b32 s5, exec_lo
	s_waitcnt vmcnt(1)
	v_readfirstlane_b32 s16, v30
	v_readfirstlane_b32 s17, v31
	s_and_b64 s[16:17], s[16:17], s[14:15]
	s_mul_i32 s18, s17, 24
	s_mul_hi_u32 s19, s16, 24
	s_mul_i32 s20, s16, 24
	s_add_i32 s19, s19, s18
	s_waitcnt vmcnt(0)
	v_add_co_u32 v26, vcc_lo, v22, s20
	v_add_co_ci_u32_e64 v27, null, s19, v23, vcc_lo
	s_and_saveexec_b32 s18, s4
	s_cbranch_execz .LBB6_141
; %bb.140:                              ;   in Loop: Header=BB6_84 Depth=1
	v_mov_b32_e32 v2, s5
	global_store_dwordx4 v[26:27], v[2:5], off offset:8
.LBB6_141:                              ;   in Loop: Header=BB6_84 Depth=1
	s_or_b32 exec_lo, exec_lo, s18
	v_cmp_gt_u64_e64 s5, s[10:11], 56
	s_lshl_b64 s[16:17], s[16:17], 12
	v_and_b32_e32 v2, 0xffffff1f, v6
	v_add_co_u32 v24, vcc_lo, v24, s16
	v_add_co_ci_u32_e64 v25, null, s17, v25, vcc_lo
	s_and_b32 s5, s5, exec_lo
	s_cselect_b32 s5, 0, 2
	s_lshl_b32 s18, s12, 2
	v_or_b32_e32 v2, s5, v2
	v_readfirstlane_b32 s16, v24
	v_readfirstlane_b32 s17, v25
	s_add_i32 s18, s18, 28
	v_and_or_b32 v6, 0x1e0, s18, v2
	global_store_dwordx4 v28, v[10:13], s[16:17] offset:16
	global_store_dwordx4 v28, v[14:17], s[16:17] offset:32
	global_store_dwordx4 v28, v[6:9], s[16:17]
	global_store_dwordx4 v28, v[18:21], s[16:17] offset:48
	s_and_saveexec_b32 s5, s4
	s_cbranch_execz .LBB6_149
; %bb.142:                              ;   in Loop: Header=BB6_84 Depth=1
	s_clause 0x1
	global_load_dwordx2 v[14:15], v3, s[6:7] offset:32 glc dlc
	global_load_dwordx2 v[6:7], v3, s[6:7] offset:40
	v_mov_b32_e32 v12, s14
	v_mov_b32_e32 v13, s15
	s_waitcnt vmcnt(0)
	v_readfirstlane_b32 s16, v6
	v_readfirstlane_b32 s17, v7
	s_and_b64 s[16:17], s[16:17], s[14:15]
	s_mul_i32 s17, s17, 24
	s_mul_hi_u32 s18, s16, 24
	s_mul_i32 s16, s16, 24
	s_add_i32 s18, s18, s17
	v_add_co_u32 v10, vcc_lo, v22, s16
	v_add_co_ci_u32_e64 v11, null, s18, v23, vcc_lo
	s_mov_b32 s16, exec_lo
	global_store_dwordx2 v[10:11], v[14:15], off
	s_waitcnt_vscnt null, 0x0
	global_atomic_cmpswap_x2 v[8:9], v3, v[12:15], s[6:7] offset:32 glc
	s_waitcnt vmcnt(0)
	v_cmpx_ne_u64_e64 v[8:9], v[14:15]
	s_cbranch_execz .LBB6_145
; %bb.143:                              ;   in Loop: Header=BB6_84 Depth=1
	s_mov_b32 s17, 0
.LBB6_144:                              ;   Parent Loop BB6_84 Depth=1
                                        ; =>  This Inner Loop Header: Depth=2
	v_mov_b32_e32 v6, s14
	v_mov_b32_e32 v7, s15
	s_sleep 1
	global_store_dwordx2 v[10:11], v[8:9], off
	s_waitcnt_vscnt null, 0x0
	global_atomic_cmpswap_x2 v[6:7], v3, v[6:9], s[6:7] offset:32 glc
	s_waitcnt vmcnt(0)
	v_cmp_eq_u64_e32 vcc_lo, v[6:7], v[8:9]
	v_mov_b32_e32 v9, v7
	v_mov_b32_e32 v8, v6
	s_or_b32 s17, vcc_lo, s17
	s_andn2_b32 exec_lo, exec_lo, s17
	s_cbranch_execnz .LBB6_144
.LBB6_145:                              ;   in Loop: Header=BB6_84 Depth=1
	s_or_b32 exec_lo, exec_lo, s16
	global_load_dwordx2 v[6:7], v3, s[6:7] offset:16
	s_mov_b32 s17, exec_lo
	s_mov_b32 s16, exec_lo
	v_mbcnt_lo_u32_b32 v2, s17, 0
	v_cmpx_eq_u32_e32 0, v2
	s_cbranch_execz .LBB6_147
; %bb.146:                              ;   in Loop: Header=BB6_84 Depth=1
	s_bcnt1_i32_b32 s17, s17
	v_mov_b32_e32 v2, s17
	s_waitcnt vmcnt(0)
	global_atomic_add_x2 v[6:7], v[2:3], off offset:8
.LBB6_147:                              ;   in Loop: Header=BB6_84 Depth=1
	s_or_b32 exec_lo, exec_lo, s16
	s_waitcnt vmcnt(0)
	global_load_dwordx2 v[8:9], v[6:7], off offset:16
	s_waitcnt vmcnt(0)
	v_cmp_eq_u64_e32 vcc_lo, 0, v[8:9]
	s_cbranch_vccnz .LBB6_149
; %bb.148:                              ;   in Loop: Header=BB6_84 Depth=1
	global_load_dword v2, v[6:7], off offset:24
	s_waitcnt vmcnt(0)
	v_readfirstlane_b32 s16, v2
	s_waitcnt_vscnt null, 0x0
	global_store_dwordx2 v[8:9], v[2:3], off
	s_and_b32 m0, s16, 0x7fffff
	s_sendmsg sendmsg(MSG_INTERRUPT)
.LBB6_149:                              ;   in Loop: Header=BB6_84 Depth=1
	s_or_b32 exec_lo, exec_lo, s5
	v_add_co_u32 v6, vcc_lo, v24, v28
	v_add_co_ci_u32_e64 v7, null, 0, v25, vcc_lo
	s_branch .LBB6_153
	.p2align	6
.LBB6_150:                              ;   in Loop: Header=BB6_153 Depth=2
	s_or_b32 exec_lo, exec_lo, s5
	v_readfirstlane_b32 s5, v2
	s_cmp_eq_u32 s5, 0
	s_cbranch_scc1 .LBB6_152
; %bb.151:                              ;   in Loop: Header=BB6_153 Depth=2
	s_sleep 1
	s_cbranch_execnz .LBB6_153
	s_branch .LBB6_155
	.p2align	6
.LBB6_152:                              ;   in Loop: Header=BB6_84 Depth=1
	s_branch .LBB6_155
.LBB6_153:                              ;   Parent Loop BB6_84 Depth=1
                                        ; =>  This Inner Loop Header: Depth=2
	v_mov_b32_e32 v2, 1
	s_and_saveexec_b32 s5, s4
	s_cbranch_execz .LBB6_150
; %bb.154:                              ;   in Loop: Header=BB6_153 Depth=2
	global_load_dword v2, v[26:27], off offset:20 glc dlc
	s_waitcnt vmcnt(0)
	buffer_gl1_inv
	buffer_gl0_inv
	v_and_b32_e32 v2, 1, v2
	s_branch .LBB6_150
.LBB6_155:                              ;   in Loop: Header=BB6_84 Depth=1
	global_load_dwordx4 v[6:9], v[6:7], off
	s_and_saveexec_b32 s16, s4
	s_cbranch_execz .LBB6_83
; %bb.156:                              ;   in Loop: Header=BB6_84 Depth=1
	s_clause 0x2
	global_load_dwordx2 v[8:9], v3, s[6:7] offset:40
	global_load_dwordx2 v[16:17], v3, s[6:7] offset:24 glc dlc
	global_load_dwordx2 v[10:11], v3, s[6:7]
	s_waitcnt vmcnt(2)
	v_readfirstlane_b32 s18, v8
	v_readfirstlane_b32 s19, v9
	s_add_u32 s17, s18, 1
	s_addc_u32 s20, s19, 0
	s_add_u32 s4, s17, s14
	s_addc_u32 s5, s20, s15
	s_cmp_eq_u64 s[4:5], 0
	s_cselect_b32 s5, s20, s5
	s_cselect_b32 s4, s17, s4
	v_mov_b32_e32 v15, s5
	s_and_b64 s[14:15], s[4:5], s[18:19]
	v_mov_b32_e32 v14, s4
	s_mul_i32 s15, s15, 24
	s_mul_hi_u32 s17, s14, 24
	s_mul_i32 s14, s14, 24
	s_add_i32 s17, s17, s15
	s_waitcnt vmcnt(0)
	v_add_co_u32 v12, vcc_lo, v10, s14
	v_add_co_ci_u32_e64 v13, null, s17, v11, vcc_lo
	global_store_dwordx2 v[12:13], v[16:17], off
	s_waitcnt_vscnt null, 0x0
	global_atomic_cmpswap_x2 v[10:11], v3, v[14:17], s[6:7] offset:24 glc
	s_waitcnt vmcnt(0)
	v_cmp_ne_u64_e32 vcc_lo, v[10:11], v[16:17]
	s_and_b32 exec_lo, exec_lo, vcc_lo
	s_cbranch_execz .LBB6_83
; %bb.157:                              ;   in Loop: Header=BB6_84 Depth=1
	s_mov_b32 s14, 0
.LBB6_158:                              ;   Parent Loop BB6_84 Depth=1
                                        ; =>  This Inner Loop Header: Depth=2
	v_mov_b32_e32 v8, s4
	v_mov_b32_e32 v9, s5
	s_sleep 1
	global_store_dwordx2 v[12:13], v[10:11], off
	s_waitcnt_vscnt null, 0x0
	global_atomic_cmpswap_x2 v[8:9], v3, v[8:11], s[6:7] offset:24 glc
	s_waitcnt vmcnt(0)
	v_cmp_eq_u64_e32 vcc_lo, v[8:9], v[10:11]
	v_mov_b32_e32 v11, v9
	v_mov_b32_e32 v10, v8
	s_or_b32 s14, vcc_lo, s14
	s_andn2_b32 exec_lo, exec_lo, s14
	s_cbranch_execnz .LBB6_158
	s_branch .LBB6_83
.LBB6_159:
	s_mov_b32 s4, 0
	s_branch .LBB6_161
.LBB6_160:
	s_mov_b32 s4, -1
.LBB6_161:
	s_and_b32 vcc_lo, exec_lo, s4
	s_cbranch_vccz .LBB6_189
; %bb.162:
	v_readfirstlane_b32 s4, v29
	s_waitcnt vmcnt(0)
	v_mov_b32_e32 v8, 0
	v_mov_b32_e32 v9, 0
	v_cmp_eq_u32_e64 s4, s4, v29
	s_and_saveexec_b32 s5, s4
	s_cbranch_execz .LBB6_168
; %bb.163:
	v_mov_b32_e32 v2, 0
	s_mov_b32 s8, exec_lo
	global_load_dwordx2 v[5:6], v2, s[6:7] offset:24 glc dlc
	s_waitcnt vmcnt(0)
	buffer_gl1_inv
	buffer_gl0_inv
	s_clause 0x1
	global_load_dwordx2 v[3:4], v2, s[6:7] offset:40
	global_load_dwordx2 v[7:8], v2, s[6:7]
	s_waitcnt vmcnt(1)
	v_and_b32_e32 v4, v4, v6
	v_and_b32_e32 v3, v3, v5
	v_mul_lo_u32 v4, v4, 24
	v_mul_hi_u32 v9, v3, 24
	v_mul_lo_u32 v3, v3, 24
	v_add_nc_u32_e32 v4, v9, v4
	s_waitcnt vmcnt(0)
	v_add_co_u32 v3, vcc_lo, v7, v3
	v_add_co_ci_u32_e64 v4, null, v8, v4, vcc_lo
	global_load_dwordx2 v[3:4], v[3:4], off glc dlc
	s_waitcnt vmcnt(0)
	global_atomic_cmpswap_x2 v[8:9], v2, v[3:6], s[6:7] offset:24 glc
	s_waitcnt vmcnt(0)
	buffer_gl1_inv
	buffer_gl0_inv
	v_cmpx_ne_u64_e64 v[8:9], v[5:6]
	s_cbranch_execz .LBB6_167
; %bb.164:
	s_mov_b32 s9, 0
.LBB6_165:                              ; =>This Inner Loop Header: Depth=1
	s_sleep 1
	s_clause 0x1
	global_load_dwordx2 v[3:4], v2, s[6:7] offset:40
	global_load_dwordx2 v[10:11], v2, s[6:7]
	v_mov_b32_e32 v5, v8
	v_mov_b32_e32 v6, v9
	s_waitcnt vmcnt(1)
	v_and_b32_e32 v3, v3, v5
	v_and_b32_e32 v4, v4, v6
	s_waitcnt vmcnt(0)
	v_mad_u64_u32 v[7:8], null, v3, 24, v[10:11]
	v_mov_b32_e32 v3, v8
	v_mad_u64_u32 v[3:4], null, v4, 24, v[3:4]
	v_mov_b32_e32 v8, v3
	global_load_dwordx2 v[3:4], v[7:8], off glc dlc
	s_waitcnt vmcnt(0)
	global_atomic_cmpswap_x2 v[8:9], v2, v[3:6], s[6:7] offset:24 glc
	s_waitcnt vmcnt(0)
	buffer_gl1_inv
	buffer_gl0_inv
	v_cmp_eq_u64_e32 vcc_lo, v[8:9], v[5:6]
	s_or_b32 s9, vcc_lo, s9
	s_andn2_b32 exec_lo, exec_lo, s9
	s_cbranch_execnz .LBB6_165
; %bb.166:
	s_or_b32 exec_lo, exec_lo, s9
.LBB6_167:
	s_or_b32 exec_lo, exec_lo, s8
.LBB6_168:
	s_or_b32 exec_lo, exec_lo, s5
	v_mov_b32_e32 v2, 0
	v_readfirstlane_b32 s9, v9
	v_readfirstlane_b32 s8, v8
	s_mov_b32 s5, exec_lo
	s_clause 0x1
	global_load_dwordx2 v[10:11], v2, s[6:7] offset:40
	global_load_dwordx4 v[4:7], v2, s[6:7]
	s_waitcnt vmcnt(1)
	v_readfirstlane_b32 s10, v10
	v_readfirstlane_b32 s11, v11
	s_and_b64 s[10:11], s[10:11], s[8:9]
	s_mul_i32 s12, s11, 24
	s_mul_hi_u32 s13, s10, 24
	s_mul_i32 s14, s10, 24
	s_add_i32 s13, s13, s12
	s_waitcnt vmcnt(0)
	v_add_co_u32 v8, vcc_lo, v4, s14
	v_add_co_ci_u32_e64 v9, null, s13, v5, vcc_lo
	s_and_saveexec_b32 s12, s4
	s_cbranch_execz .LBB6_170
; %bb.169:
	v_mov_b32_e32 v10, s5
	v_mov_b32_e32 v11, v2
	;; [unrolled: 1-line block ×4, first 2 shown]
	global_store_dwordx4 v[8:9], v[10:13], off offset:8
.LBB6_170:
	s_or_b32 exec_lo, exec_lo, s12
	s_lshl_b64 s[10:11], s[10:11], 12
	s_mov_b32 s12, 0
	v_add_co_u32 v6, vcc_lo, v6, s10
	v_add_co_ci_u32_e64 v7, null, s11, v7, vcc_lo
	s_mov_b32 s13, s12
	s_mov_b32 s14, s12
	;; [unrolled: 1-line block ×3, first 2 shown]
	v_and_or_b32 v0, 0xffffff1d, v0, 34
	v_mov_b32_e32 v3, v2
	v_readfirstlane_b32 s10, v6
	v_readfirstlane_b32 s11, v7
	v_mov_b32_e32 v10, s12
	v_mov_b32_e32 v11, s13
	;; [unrolled: 1-line block ×4, first 2 shown]
	global_store_dwordx4 v28, v[0:3], s[10:11]
	global_store_dwordx4 v28, v[10:13], s[10:11] offset:16
	global_store_dwordx4 v28, v[10:13], s[10:11] offset:32
	;; [unrolled: 1-line block ×3, first 2 shown]
	s_and_saveexec_b32 s5, s4
	s_cbranch_execz .LBB6_178
; %bb.171:
	v_mov_b32_e32 v6, 0
	v_mov_b32_e32 v10, s8
	;; [unrolled: 1-line block ×3, first 2 shown]
	s_clause 0x1
	global_load_dwordx2 v[12:13], v6, s[6:7] offset:32 glc dlc
	global_load_dwordx2 v[0:1], v6, s[6:7] offset:40
	s_waitcnt vmcnt(0)
	v_readfirstlane_b32 s10, v0
	v_readfirstlane_b32 s11, v1
	s_and_b64 s[10:11], s[10:11], s[8:9]
	s_mul_i32 s11, s11, 24
	s_mul_hi_u32 s12, s10, 24
	s_mul_i32 s10, s10, 24
	s_add_i32 s12, s12, s11
	v_add_co_u32 v4, vcc_lo, v4, s10
	v_add_co_ci_u32_e64 v5, null, s12, v5, vcc_lo
	s_mov_b32 s10, exec_lo
	global_store_dwordx2 v[4:5], v[12:13], off
	s_waitcnt_vscnt null, 0x0
	global_atomic_cmpswap_x2 v[2:3], v6, v[10:13], s[6:7] offset:32 glc
	s_waitcnt vmcnt(0)
	v_cmpx_ne_u64_e64 v[2:3], v[12:13]
	s_cbranch_execz .LBB6_174
; %bb.172:
	s_mov_b32 s11, 0
.LBB6_173:                              ; =>This Inner Loop Header: Depth=1
	v_mov_b32_e32 v0, s8
	v_mov_b32_e32 v1, s9
	s_sleep 1
	global_store_dwordx2 v[4:5], v[2:3], off
	s_waitcnt_vscnt null, 0x0
	global_atomic_cmpswap_x2 v[0:1], v6, v[0:3], s[6:7] offset:32 glc
	s_waitcnt vmcnt(0)
	v_cmp_eq_u64_e32 vcc_lo, v[0:1], v[2:3]
	v_mov_b32_e32 v3, v1
	v_mov_b32_e32 v2, v0
	s_or_b32 s11, vcc_lo, s11
	s_andn2_b32 exec_lo, exec_lo, s11
	s_cbranch_execnz .LBB6_173
.LBB6_174:
	s_or_b32 exec_lo, exec_lo, s10
	v_mov_b32_e32 v3, 0
	s_mov_b32 s11, exec_lo
	s_mov_b32 s10, exec_lo
	v_mbcnt_lo_u32_b32 v2, s11, 0
	global_load_dwordx2 v[0:1], v3, s[6:7] offset:16
	v_cmpx_eq_u32_e32 0, v2
	s_cbranch_execz .LBB6_176
; %bb.175:
	s_bcnt1_i32_b32 s11, s11
	v_mov_b32_e32 v2, s11
	s_waitcnt vmcnt(0)
	global_atomic_add_x2 v[0:1], v[2:3], off offset:8
.LBB6_176:
	s_or_b32 exec_lo, exec_lo, s10
	s_waitcnt vmcnt(0)
	global_load_dwordx2 v[2:3], v[0:1], off offset:16
	s_waitcnt vmcnt(0)
	v_cmp_eq_u64_e32 vcc_lo, 0, v[2:3]
	s_cbranch_vccnz .LBB6_178
; %bb.177:
	global_load_dword v0, v[0:1], off offset:24
	v_mov_b32_e32 v1, 0
	s_waitcnt vmcnt(0)
	v_readfirstlane_b32 s10, v0
	s_waitcnt_vscnt null, 0x0
	global_store_dwordx2 v[2:3], v[0:1], off
	s_and_b32 m0, s10, 0x7fffff
	s_sendmsg sendmsg(MSG_INTERRUPT)
.LBB6_178:
	s_or_b32 exec_lo, exec_lo, s5
	s_branch .LBB6_182
.LBB6_179:                              ;   in Loop: Header=BB6_182 Depth=1
	s_or_b32 exec_lo, exec_lo, s5
	v_readfirstlane_b32 s5, v0
	s_cmp_eq_u32 s5, 0
	s_cbranch_scc1 .LBB6_181
; %bb.180:                              ;   in Loop: Header=BB6_182 Depth=1
	s_sleep 1
	s_cbranch_execnz .LBB6_182
	s_branch .LBB6_184
.LBB6_181:
	s_branch .LBB6_184
.LBB6_182:                              ; =>This Inner Loop Header: Depth=1
	v_mov_b32_e32 v0, 1
	s_and_saveexec_b32 s5, s4
	s_cbranch_execz .LBB6_179
; %bb.183:                              ;   in Loop: Header=BB6_182 Depth=1
	global_load_dword v0, v[8:9], off offset:20 glc dlc
	s_waitcnt vmcnt(0)
	buffer_gl1_inv
	buffer_gl0_inv
	v_and_b32_e32 v0, 1, v0
	s_branch .LBB6_179
.LBB6_184:
	s_and_saveexec_b32 s10, s4
	s_cbranch_execz .LBB6_188
; %bb.185:
	v_mov_b32_e32 v6, 0
	s_clause 0x2
	global_load_dwordx2 v[0:1], v6, s[6:7] offset:40
	global_load_dwordx2 v[9:10], v6, s[6:7] offset:24 glc dlc
	global_load_dwordx2 v[2:3], v6, s[6:7]
	s_waitcnt vmcnt(2)
	v_readfirstlane_b32 s12, v0
	v_readfirstlane_b32 s13, v1
	s_add_u32 s11, s12, 1
	s_addc_u32 s14, s13, 0
	s_add_u32 s4, s11, s8
	s_addc_u32 s5, s14, s9
	s_cmp_eq_u64 s[4:5], 0
	s_cselect_b32 s5, s14, s5
	s_cselect_b32 s4, s11, s4
	v_mov_b32_e32 v8, s5
	s_and_b64 s[8:9], s[4:5], s[12:13]
	v_mov_b32_e32 v7, s4
	s_mul_i32 s9, s9, 24
	s_mul_hi_u32 s11, s8, 24
	s_mul_i32 s8, s8, 24
	s_add_i32 s11, s11, s9
	s_waitcnt vmcnt(0)
	v_add_co_u32 v4, vcc_lo, v2, s8
	v_add_co_ci_u32_e64 v5, null, s11, v3, vcc_lo
	global_store_dwordx2 v[4:5], v[9:10], off
	s_waitcnt_vscnt null, 0x0
	global_atomic_cmpswap_x2 v[2:3], v6, v[7:10], s[6:7] offset:24 glc
	s_waitcnt vmcnt(0)
	v_cmp_ne_u64_e32 vcc_lo, v[2:3], v[9:10]
	s_and_b32 exec_lo, exec_lo, vcc_lo
	s_cbranch_execz .LBB6_188
; %bb.186:
	s_mov_b32 s8, 0
.LBB6_187:                              ; =>This Inner Loop Header: Depth=1
	v_mov_b32_e32 v0, s4
	v_mov_b32_e32 v1, s5
	s_sleep 1
	global_store_dwordx2 v[4:5], v[2:3], off
	s_waitcnt_vscnt null, 0x0
	global_atomic_cmpswap_x2 v[0:1], v6, v[0:3], s[6:7] offset:24 glc
	s_waitcnt vmcnt(0)
	v_cmp_eq_u64_e32 vcc_lo, v[0:1], v[2:3]
	v_mov_b32_e32 v3, v1
	v_mov_b32_e32 v2, v0
	s_or_b32 s8, vcc_lo, s8
	s_andn2_b32 exec_lo, exec_lo, s8
	s_cbranch_execnz .LBB6_187
.LBB6_188:
	s_or_b32 exec_lo, exec_lo, s10
.LBB6_189:
	s_getpc_b64 s[4:5]
	s_add_u32 s4, s4, .str.29@rel32@lo+4
	s_addc_u32 s5, s5, .str.29@rel32@hi+12
	s_getpc_b64 s[6:7]
	s_add_u32 s6, s6, .str.19@rel32@lo+4
	s_addc_u32 s7, s7, .str.19@rel32@hi+12
	s_getpc_b64 s[8:9]
	s_add_u32 s8, s8, __PRETTY_FUNCTION__._ZN7VecsMemIjLi8192EE5fetchEi@rel32@lo+4
	s_addc_u32 s9, s9, __PRETTY_FUNCTION__._ZN7VecsMemIjLi8192EE5fetchEi@rel32@hi+12
	s_waitcnt vmcnt(0)
	v_mov_b32_e32 v0, s4
	v_mov_b32_e32 v1, s5
	;; [unrolled: 1-line block ×7, first 2 shown]
	s_getpc_b64 s[10:11]
	s_add_u32 s10, s10, __assert_fail@rel32@lo+4
	s_addc_u32 s11, s11, __assert_fail@rel32@hi+12
	s_mov_b64 s[8:9], s[52:53]
	s_swappc_b64 s[30:31], s[10:11]
	s_or_b32 s4, s64, exec_lo
.LBB6_190:
	s_or_b32 exec_lo, exec_lo, s22
	s_andn2_b32 s5, s64, exec_lo
	s_and_b32 s4, s4, exec_lo
	s_or_b32 s22, s5, s4
	s_orn2_b32 s5, s27, exec_lo
.LBB6_191:
	s_or_b32 exec_lo, exec_lo, s23
	s_mov_b32 s4, 0
                                        ; implicit-def: $vgpr66
                                        ; implicit-def: $vgpr54_vgpr55
	s_and_saveexec_b32 s23, s5
	s_cbranch_execz .LBB6_398
; %bb.192:
	flat_load_dwordx2 v[54:55], v[52:53] offset:8
	v_mov_b32_e32 v1, 0
	v_mov_b32_e32 v66, 0
	;; [unrolled: 1-line block ×4, first 2 shown]
	s_mov_b32 s9, 0
	s_mov_b32 s12, 0
	;; [unrolled: 1-line block ×3, first 2 shown]
	buffer_store_dword v65, off, s[0:3], s33 offset:132
	buffer_store_dword v64, off, s[0:3], s33 offset:128
                                        ; implicit-def: $sgpr13
	s_branch .LBB6_194
.LBB6_193:                              ;   in Loop: Header=BB6_194 Depth=1
	s_or_b32 exec_lo, exec_lo, s7
	s_xor_b32 s4, s6, -1
	s_and_b32 s5, exec_lo, s5
	s_or_b32 s12, s5, s12
	s_andn2_b32 s5, s13, exec_lo
	s_and_b32 s4, s4, exec_lo
	s_or_b32 s13, s5, s4
	s_andn2_b32 exec_lo, exec_lo, s12
	s_cbranch_execz .LBB6_234
.LBB6_194:                              ; =>This Loop Header: Depth=1
                                        ;     Child Loop BB6_197 Depth 2
                                        ;     Child Loop BB6_202 Depth 2
                                        ;       Child Loop BB6_206 Depth 3
                                        ;     Child Loop BB6_215 Depth 2
                                        ;       Child Loop BB6_219 Depth 3
	s_mov_b32 s11, s9
	s_lshl_b64 s[4:5], s[10:11], 2
	s_mov_b32 s11, exec_lo
	s_waitcnt vmcnt(0) lgkmcnt(0)
	v_add_co_u32 v2, vcc_lo, v54, s4
	v_add_co_ci_u32_e64 v3, null, s5, v55, vcc_lo
	s_mov_b32 s4, -1
	flat_load_dword v0, v[2:3]
	s_waitcnt vmcnt(0) lgkmcnt(0)
	v_cmpx_lt_i32_e32 -1, v0
	s_cbranch_execz .LBB6_232
; %bb.195:                              ;   in Loop: Header=BB6_194 Depth=1
	v_mov_b32_e32 v4, v68
	v_mov_b32_e32 v5, v69
	s_mov_b32 s5, 0
	s_mov_b32 s6, 0
                                        ; implicit-def: $sgpr7
	s_branch .LBB6_197
	.p2align	6
.LBB6_196:                              ;   in Loop: Header=BB6_197 Depth=2
	s_or_b32 exec_lo, exec_lo, s8
	s_and_b32 s4, exec_lo, s7
	s_or_b32 s5, s4, s5
	s_andn2_b32 exec_lo, exec_lo, s5
	s_cbranch_execz .LBB6_199
.LBB6_197:                              ;   Parent Loop BB6_194 Depth=1
                                        ; =>  This Inner Loop Header: Depth=2
	flat_load_dword v8, v[4:5]
	s_or_b32 s7, s7, exec_lo
	s_waitcnt vmcnt(0) lgkmcnt(0)
	v_and_b32_e32 v7, v8, v0
	v_cmp_ne_u32_e32 vcc_lo, v7, v8
	v_mov_b32_e32 v7, s6
	s_and_saveexec_b32 s8, vcc_lo
	s_cbranch_execz .LBB6_196
; %bb.198:                              ;   in Loop: Header=BB6_197 Depth=2
	s_add_i32 s6, s6, 1
	v_add_co_u32 v4, s4, v4, 4
	v_cmp_eq_u32_e32 vcc_lo, s6, v70
	v_add_co_ci_u32_e64 v5, null, 0, v5, s4
	v_mov_b32_e32 v7, v70
	s_andn2_b32 s4, s7, exec_lo
	s_and_b32 s7, vcc_lo, exec_lo
	s_or_b32 s7, s4, s7
	s_branch .LBB6_196
.LBB6_199:                              ;   in Loop: Header=BB6_194 Depth=1
	s_or_b32 exec_lo, exec_lo, s5
	s_mov_b32 s4, -1
	s_mov_b32 s14, exec_lo
	v_cmpx_ne_u32_e64 v7, v70
	s_cbranch_execz .LBB6_231
; %bb.200:                              ;   in Loop: Header=BB6_194 Depth=1
	v_bfi_b32 v8, v8, 0, v0
	s_mov_b32 s7, 0
	v_cmp_lt_i32_e32 vcc_lo, 0, v56
	s_mov_b32 s8, s7
	s_branch .LBB6_202
.LBB6_201:                              ;   in Loop: Header=BB6_202 Depth=2
	s_or_b32 exec_lo, exec_lo, s6
	s_and_b32 s4, exec_lo, s15
	s_or_b32 s7, s4, s7
	s_andn2_b32 exec_lo, exec_lo, s7
	s_cbranch_execz .LBB6_212
.LBB6_202:                              ;   Parent Loop BB6_194 Depth=1
                                        ; =>  This Loop Header: Depth=2
                                        ;       Child Loop BB6_206 Depth 3
	s_mov_b32 s15, -1
	s_mov_b32 s5, -1
	s_mov_b32 s16, exec_lo
	v_cmpx_ne_u32_e64 s8, v7
	s_cbranch_execz .LBB6_210
; %bb.203:                              ;   in Loop: Header=BB6_202 Depth=2
	v_mov_b32_e32 v11, 0
	s_and_saveexec_b32 s17, vcc_lo
	s_cbranch_execz .LBB6_209
; %bb.204:                              ;   in Loop: Header=BB6_202 Depth=2
	s_lshl_b64 s[4:5], s[8:9], 2
	s_mov_b32 s18, 0
	v_add_co_u32 v4, s4, v68, s4
	v_add_co_ci_u32_e64 v5, null, s5, v69, s4
	s_mov_b32 s19, 0
                                        ; implicit-def: $sgpr20
	flat_load_dword v9, v[4:5]
	v_mov_b32_e32 v4, v54
	v_mov_b32_e32 v5, v55
	s_waitcnt vmcnt(0) lgkmcnt(0)
	v_not_b32_e32 v10, v9
	s_inst_prefetch 0x1
	s_branch .LBB6_206
	.p2align	6
.LBB6_205:                              ;   in Loop: Header=BB6_206 Depth=3
	s_or_b32 exec_lo, exec_lo, s6
	s_and_b32 s4, exec_lo, s20
	s_or_b32 s18, s4, s18
	s_andn2_b32 exec_lo, exec_lo, s18
	s_cbranch_execz .LBB6_208
.LBB6_206:                              ;   Parent Loop BB6_194 Depth=1
                                        ;     Parent Loop BB6_202 Depth=2
                                        ; =>    This Inner Loop Header: Depth=3
	flat_load_dword v6, v[4:5]
	s_or_b32 s20, s20, exec_lo
	s_waitcnt vmcnt(0) lgkmcnt(0)
	v_and_b32_e32 v11, v6, v9
	v_and_b32_e32 v12, v6, v10
	v_cmp_gt_i32_e64 s6, 0, v6
	v_cmp_ne_u32_e64 s4, v11, v9
	v_cmp_ne_u32_e64 s5, v8, v12
	v_mov_b32_e32 v11, s19
	s_or_b32 s4, s4, s5
	s_or_b32 s4, s4, s6
	s_and_saveexec_b32 s6, s4
	s_cbranch_execz .LBB6_205
; %bb.207:                              ;   in Loop: Header=BB6_206 Depth=3
	s_add_i32 s19, s19, 1
	v_add_co_u32 v4, s5, v4, 4
	v_cmp_eq_u32_e64 s4, s19, v56
	v_add_co_ci_u32_e64 v5, null, 0, v5, s5
	v_mov_b32_e32 v11, v56
	s_andn2_b32 s5, s20, exec_lo
	s_and_b32 s4, s4, exec_lo
	s_or_b32 s20, s5, s4
	s_branch .LBB6_205
.LBB6_208:                              ;   in Loop: Header=BB6_202 Depth=2
	s_inst_prefetch 0x2
	s_or_b32 exec_lo, exec_lo, s18
.LBB6_209:                              ;   in Loop: Header=BB6_202 Depth=2
	s_or_b32 exec_lo, exec_lo, s17
	v_cmp_ne_u32_e64 s4, v11, v56
	s_orn2_b32 s5, s4, exec_lo
.LBB6_210:                              ;   in Loop: Header=BB6_202 Depth=2
	s_or_b32 exec_lo, exec_lo, s16
	v_mov_b32_e32 v4, s8
	s_and_saveexec_b32 s6, s5
	s_cbranch_execz .LBB6_201
; %bb.211:                              ;   in Loop: Header=BB6_202 Depth=2
	s_add_i32 s8, s8, 1
	v_mov_b32_e32 v4, v70
	v_cmp_eq_u32_e64 s4, s8, v70
	s_orn2_b32 s15, s4, exec_lo
	s_branch .LBB6_201
.LBB6_212:                              ;   in Loop: Header=BB6_194 Depth=1
	s_or_b32 exec_lo, exec_lo, s7
	s_mov_b32 s4, -1
	s_mov_b32 s15, exec_lo
	v_cmpx_eq_u32_e64 v4, v70
	s_cbranch_execz .LBB6_230
; %bb.213:                              ;   in Loop: Header=BB6_194 Depth=1
	v_ashrrev_i32_e32 v67, 31, v66
	v_add_nc_u32_e32 v71, 1, v66
	v_or_b32_e32 v0, 0x80000000, v0
	s_mov_b32 s16, 0
                                        ; implicit-def: $sgpr17
	s_mov_b32 s8, s16
	v_lshlrev_b64 v[4:5], 2, v[66:67]
	v_add_co_u32 v4, vcc_lo, v64, v4
	v_add_co_ci_u32_e64 v5, null, v65, v5, vcc_lo
	flat_store_dword v[4:5], v8
	flat_store_dword v[2:3], v0
	s_branch .LBB6_215
.LBB6_214:                              ;   in Loop: Header=BB6_215 Depth=2
	s_or_b32 exec_lo, exec_lo, s6
	s_xor_b32 s4, s5, -1
	s_and_b32 s5, exec_lo, s18
	s_or_b32 s16, s5, s16
	s_andn2_b32 s5, s17, exec_lo
	s_and_b32 s4, s4, exec_lo
	s_or_b32 s17, s5, s4
	s_andn2_b32 exec_lo, exec_lo, s16
	s_cbranch_execz .LBB6_227
.LBB6_215:                              ;   Parent Loop BB6_194 Depth=1
                                        ; =>  This Loop Header: Depth=2
                                        ;       Child Loop BB6_219 Depth 3
	s_mov_b32 s18, -1
	s_mov_b32 s4, -1
	s_mov_b32 s19, exec_lo
	v_cmpx_ne_u32_e64 s8, v7
	s_cbranch_execz .LBB6_225
; %bb.216:                              ;   in Loop: Header=BB6_215 Depth=2
	flat_load_dword v0, v[52:53] offset:4
	v_mov_b32_e32 v4, 0
	v_mov_b32_e32 v5, 0
	s_mov_b32 s4, 0
	s_mov_b32 s20, exec_lo
	s_waitcnt vmcnt(0) lgkmcnt(0)
	v_cmpx_lt_i32_e32 0, v0
	s_cbranch_execz .LBB6_222
; %bb.217:                              ;   in Loop: Header=BB6_215 Depth=2
	s_lshl_b64 s[4:5], s[8:9], 2
	s_mov_b64 s[6:7], 0
	v_add_co_u32 v2, vcc_lo, v68, s4
	v_add_co_ci_u32_e64 v3, null, s5, v69, vcc_lo
	s_mov_b32 s27, 0
                                        ; implicit-def: $sgpr28
                                        ; implicit-def: $sgpr40
                                        ; implicit-def: $sgpr29
	flat_load_dword v9, v[2:3]
	v_mov_b32_e32 v2, v54
	v_mov_b32_e32 v3, v55
	s_waitcnt vmcnt(0) lgkmcnt(0)
	v_not_b32_e32 v10, v9
	s_inst_prefetch 0x1
	s_branch .LBB6_219
	.p2align	6
.LBB6_218:                              ;   in Loop: Header=BB6_219 Depth=3
	s_or_b32 exec_lo, exec_lo, s5
	s_and_b32 s4, exec_lo, s40
	s_or_b32 s27, s4, s27
	s_andn2_b32 s4, s28, exec_lo
	s_and_b32 s5, s29, exec_lo
	s_or_b32 s28, s4, s5
	s_andn2_b32 exec_lo, exec_lo, s27
	s_cbranch_execz .LBB6_221
.LBB6_219:                              ;   Parent Loop BB6_194 Depth=1
                                        ;     Parent Loop BB6_215 Depth=2
                                        ; =>    This Inner Loop Header: Depth=3
	flat_load_dword v6, v[2:3]
	s_or_b32 s29, s29, exec_lo
	s_or_b32 s40, s40, exec_lo
	s_waitcnt vmcnt(0) lgkmcnt(0)
	v_and_b32_e32 v4, v6, v9
	v_and_b32_e32 v5, v6, v10
	v_cmp_gt_i32_e64 s5, 0, v6
	v_cmp_ne_u32_e32 vcc_lo, v4, v9
	v_cmp_ne_u32_e64 s4, v8, v5
	v_mov_b32_e32 v4, s6
	v_mov_b32_e32 v5, s7
	s_or_b32 s4, vcc_lo, s4
	s_or_b32 s4, s4, s5
	s_and_saveexec_b32 s5, s4
	s_cbranch_execz .LBB6_218
; %bb.220:                              ;   in Loop: Header=BB6_219 Depth=3
	s_add_u32 s6, s6, 1
	v_add_co_u32 v2, s4, v2, 4
	v_cmp_eq_u32_e32 vcc_lo, s6, v0
	v_mov_b32_e32 v5, v1
	v_add_co_ci_u32_e64 v3, null, 0, v3, s4
	v_mov_b32_e32 v4, v0
	s_addc_u32 s7, s7, 0
	s_andn2_b32 s4, s40, exec_lo
	s_and_b32 s40, vcc_lo, exec_lo
	s_andn2_b32 s29, s29, exec_lo
	s_or_b32 s40, s4, s40
	s_branch .LBB6_218
.LBB6_221:                              ;   in Loop: Header=BB6_215 Depth=2
	s_inst_prefetch 0x2
	s_or_b32 exec_lo, exec_lo, s27
	s_and_b32 s4, s28, exec_lo
.LBB6_222:                              ;   in Loop: Header=BB6_215 Depth=2
	s_or_b32 exec_lo, exec_lo, s20
	s_mov_b32 s5, 0
	s_and_saveexec_b32 s6, s4
	s_cbranch_execz .LBB6_224
; %bb.223:                              ;   in Loop: Header=BB6_215 Depth=2
	v_lshlrev_b64 v[2:3], 2, v[4:5]
	v_or_b32_e32 v0, 0x80000000, v6
	s_mov_b32 s5, exec_lo
	v_add_co_u32 v2, vcc_lo, v54, v2
	v_add_co_ci_u32_e64 v3, null, v55, v3, vcc_lo
	flat_store_dword v[2:3], v0
.LBB6_224:                              ;   in Loop: Header=BB6_215 Depth=2
	s_or_b32 exec_lo, exec_lo, s6
	s_orn2_b32 s4, s5, exec_lo
.LBB6_225:                              ;   in Loop: Header=BB6_215 Depth=2
	s_or_b32 exec_lo, exec_lo, s19
	s_mov_b32 s5, -1
	s_and_saveexec_b32 s6, s4
	s_cbranch_execz .LBB6_214
; %bb.226:                              ;   in Loop: Header=BB6_215 Depth=2
	s_add_i32 s8, s8, 1
	s_xor_b32 s5, exec_lo, -1
	v_cmp_eq_u32_e32 vcc_lo, s8, v70
	s_orn2_b32 s18, vcc_lo, exec_lo
	s_branch .LBB6_214
.LBB6_227:                              ;   in Loop: Header=BB6_194 Depth=1
	s_or_b32 exec_lo, exec_lo, s16
	s_mov_b32 s4, 0
                                        ; implicit-def: $vgpr56
	s_and_saveexec_b32 s5, s17
	s_xor_b32 s5, exec_lo, s5
	s_cbranch_execz .LBB6_229
; %bb.228:                              ;   in Loop: Header=BB6_194 Depth=1
	flat_load_dword v56, v[52:53] offset:4
	s_mov_b32 s4, exec_lo
.LBB6_229:                              ;   in Loop: Header=BB6_194 Depth=1
	s_or_b32 exec_lo, exec_lo, s5
	v_mov_b32_e32 v66, v71
	s_orn2_b32 s4, s4, exec_lo
.LBB6_230:                              ;   in Loop: Header=BB6_194 Depth=1
	s_or_b32 exec_lo, exec_lo, s15
	s_orn2_b32 s4, s4, exec_lo
.LBB6_231:                              ;   in Loop: Header=BB6_194 Depth=1
	s_or_b32 exec_lo, exec_lo, s14
	s_orn2_b32 s4, s4, exec_lo
.LBB6_232:                              ;   in Loop: Header=BB6_194 Depth=1
	s_or_b32 exec_lo, exec_lo, s11
	s_mov_b32 s5, -1
	s_mov_b32 s6, -1
	s_and_saveexec_b32 s7, s4
	s_cbranch_execz .LBB6_193
; %bb.233:                              ;   in Loop: Header=BB6_194 Depth=1
	s_add_i32 s10, s10, 1
	s_xor_b32 s6, exec_lo, -1
	s_waitcnt vmcnt(0) lgkmcnt(0)
	v_cmp_ge_i32_e32 vcc_lo, s10, v56
	s_orn2_b32 s5, vcc_lo, exec_lo
	s_branch .LBB6_193
.LBB6_234:
	s_or_b32 exec_lo, exec_lo, s12
	s_mov_b32 s28, 0
	s_mov_b32 s29, s22
	s_and_saveexec_b32 s4, s13
	s_xor_b32 s27, exec_lo, s4
	s_cbranch_execz .LBB6_395
; %bb.235:
	v_mul_lo_u32 v0, v66, v70
	v_mov_b32_e32 v68, 0
	v_mov_b32_e32 v69, 0
	s_mov_b32 s4, -1
	s_mov_b32 s40, s22
	s_mov_b32 s28, exec_lo
	buffer_store_dword v71, off, s[0:3], s33 offset:124
	s_waitcnt vmcnt(0) lgkmcnt(0)
	v_sub_nc_u32_e32 v67, v56, v0
	v_mov_b32_e32 v0, 0
	buffer_store_dword v0, off, s[0:3], s33 offset:140
	v_cmpx_lt_i32_e32 0, v67
	s_cbranch_execz .LBB6_382
; %bb.236:
	flat_load_dword v0, v[44:45]
	v_mov_b32_e32 v68, 0
	v_mov_b32_e32 v69, 0
	s_mov_b32 s29, 0
	s_mov_b32 s4, exec_lo
	s_waitcnt vmcnt(0) lgkmcnt(0)
	v_add_nc_u32_e32 v0, v0, v67
	v_cmpx_gt_i32_e32 0x2001, v0
	s_xor_b32 s4, exec_lo, s4
	s_cbranch_execz .LBB6_238
; %bb.237:
	v_ashrrev_i32_e32 v1, 31, v0
	v_mov_b32_e32 v68, 0
	s_mov_b32 s29, exec_lo
	flat_store_dword v[44:45], v0
	v_lshlrev_b64 v[1:2], 2, v[0:1]
	v_lshlrev_b64 v[3:4], 2, v[67:68]
	v_add_co_u32 v1, vcc_lo, v44, v1
	v_add_co_ci_u32_e64 v2, null, v45, v2, vcc_lo
	v_sub_co_u32 v1, vcc_lo, v1, v3
	v_sub_co_ci_u32_e64 v2, null, v2, v4, vcc_lo
	v_add_co_u32 v68, vcc_lo, v1, 4
	v_add_co_ci_u32_e64 v69, null, 0, v2, vcc_lo
.LBB6_238:
	s_or_saveexec_b32 s40, s4
	s_mov_b32 s4, s22
	s_xor_b32 exec_lo, exec_lo, s40
	s_cbranch_execz .LBB6_381
; %bb.239:
	s_load_dwordx2 s[6:7], s[52:53], 0x50
	v_mbcnt_lo_u32_b32 v29, -1, 0
	v_mov_b32_e32 v6, 0
	v_mov_b32_e32 v7, 0
	v_readfirstlane_b32 s4, v29
	v_cmp_eq_u32_e64 s4, s4, v29
	s_and_saveexec_b32 s5, s4
	s_cbranch_execz .LBB6_245
; %bb.240:
	v_mov_b32_e32 v0, 0
	s_mov_b32 s8, exec_lo
	s_waitcnt lgkmcnt(0)
	global_load_dwordx2 v[3:4], v0, s[6:7] offset:24 glc dlc
	s_waitcnt vmcnt(0)
	buffer_gl1_inv
	buffer_gl0_inv
	s_clause 0x1
	global_load_dwordx2 v[1:2], v0, s[6:7] offset:40
	global_load_dwordx2 v[5:6], v0, s[6:7]
	s_waitcnt vmcnt(1)
	v_and_b32_e32 v2, v2, v4
	v_and_b32_e32 v1, v1, v3
	v_mul_lo_u32 v2, v2, 24
	v_mul_hi_u32 v7, v1, 24
	v_mul_lo_u32 v1, v1, 24
	v_add_nc_u32_e32 v2, v7, v2
	s_waitcnt vmcnt(0)
	v_add_co_u32 v1, vcc_lo, v5, v1
	v_add_co_ci_u32_e64 v2, null, v6, v2, vcc_lo
	global_load_dwordx2 v[1:2], v[1:2], off glc dlc
	s_waitcnt vmcnt(0)
	global_atomic_cmpswap_x2 v[6:7], v0, v[1:4], s[6:7] offset:24 glc
	s_waitcnt vmcnt(0)
	buffer_gl1_inv
	buffer_gl0_inv
	v_cmpx_ne_u64_e64 v[6:7], v[3:4]
	s_cbranch_execz .LBB6_244
; %bb.241:
	s_mov_b32 s9, 0
.LBB6_242:                              ; =>This Inner Loop Header: Depth=1
	s_sleep 1
	s_clause 0x1
	global_load_dwordx2 v[1:2], v0, s[6:7] offset:40
	global_load_dwordx2 v[8:9], v0, s[6:7]
	v_mov_b32_e32 v3, v6
	v_mov_b32_e32 v4, v7
	s_waitcnt vmcnt(1)
	v_and_b32_e32 v1, v1, v3
	v_and_b32_e32 v2, v2, v4
	s_waitcnt vmcnt(0)
	v_mad_u64_u32 v[5:6], null, v1, 24, v[8:9]
	v_mov_b32_e32 v1, v6
	v_mad_u64_u32 v[1:2], null, v2, 24, v[1:2]
	v_mov_b32_e32 v6, v1
	global_load_dwordx2 v[1:2], v[5:6], off glc dlc
	s_waitcnt vmcnt(0)
	global_atomic_cmpswap_x2 v[6:7], v0, v[1:4], s[6:7] offset:24 glc
	s_waitcnt vmcnt(0)
	buffer_gl1_inv
	buffer_gl0_inv
	v_cmp_eq_u64_e32 vcc_lo, v[6:7], v[3:4]
	s_or_b32 s9, vcc_lo, s9
	s_andn2_b32 exec_lo, exec_lo, s9
	s_cbranch_execnz .LBB6_242
; %bb.243:
	s_or_b32 exec_lo, exec_lo, s9
.LBB6_244:
	s_or_b32 exec_lo, exec_lo, s8
.LBB6_245:
	s_or_b32 exec_lo, exec_lo, s5
	v_mov_b32_e32 v5, 0
	v_readfirstlane_b32 s9, v7
	v_readfirstlane_b32 s8, v6
	s_mov_b32 s5, exec_lo
	s_waitcnt lgkmcnt(0)
	s_clause 0x1
	global_load_dwordx2 v[8:9], v5, s[6:7] offset:40
	global_load_dwordx4 v[0:3], v5, s[6:7]
	s_waitcnt vmcnt(1)
	v_readfirstlane_b32 s10, v8
	v_readfirstlane_b32 s11, v9
	s_and_b64 s[10:11], s[10:11], s[8:9]
	s_mul_i32 s12, s11, 24
	s_mul_hi_u32 s13, s10, 24
	s_mul_i32 s14, s10, 24
	s_add_i32 s13, s13, s12
	s_waitcnt vmcnt(0)
	v_add_co_u32 v8, vcc_lo, v0, s14
	v_add_co_ci_u32_e64 v9, null, s13, v1, vcc_lo
	s_and_saveexec_b32 s12, s4
	s_cbranch_execz .LBB6_247
; %bb.246:
	v_mov_b32_e32 v4, s5
	v_mov_b32_e32 v6, 2
	;; [unrolled: 1-line block ×3, first 2 shown]
	global_store_dwordx4 v[8:9], v[4:7], off offset:8
.LBB6_247:
	s_or_b32 exec_lo, exec_lo, s12
	s_lshl_b64 s[10:11], s[10:11], 12
	v_lshlrev_b32_e32 v28, 6, v29
	v_add_co_u32 v2, vcc_lo, v2, s10
	v_add_co_ci_u32_e64 v3, null, s11, v3, vcc_lo
	s_mov_b32 s12, 0
	v_add_co_u32 v10, vcc_lo, v2, v28
	s_mov_b32 s13, s12
	s_mov_b32 s14, s12
	;; [unrolled: 1-line block ×3, first 2 shown]
	v_mov_b32_e32 v4, 33
	v_mov_b32_e32 v6, v5
	;; [unrolled: 1-line block ×3, first 2 shown]
	v_readfirstlane_b32 s10, v2
	v_readfirstlane_b32 s11, v3
	v_mov_b32_e32 v12, s12
	v_add_co_ci_u32_e64 v11, null, 0, v3, vcc_lo
	v_mov_b32_e32 v13, s13
	v_mov_b32_e32 v14, s14
	;; [unrolled: 1-line block ×3, first 2 shown]
	global_store_dwordx4 v28, v[4:7], s[10:11]
	global_store_dwordx4 v28, v[12:15], s[10:11] offset:16
	global_store_dwordx4 v28, v[12:15], s[10:11] offset:32
	;; [unrolled: 1-line block ×3, first 2 shown]
	s_and_saveexec_b32 s5, s4
	s_cbranch_execz .LBB6_255
; %bb.248:
	v_mov_b32_e32 v6, 0
	v_mov_b32_e32 v12, s8
	;; [unrolled: 1-line block ×3, first 2 shown]
	s_mov_b32 s10, exec_lo
	s_clause 0x1
	global_load_dwordx2 v[14:15], v6, s[6:7] offset:32 glc dlc
	global_load_dwordx2 v[2:3], v6, s[6:7] offset:40
	s_waitcnt vmcnt(0)
	v_and_b32_e32 v3, s9, v3
	v_and_b32_e32 v2, s8, v2
	v_mul_lo_u32 v3, v3, 24
	v_mul_hi_u32 v4, v2, 24
	v_mul_lo_u32 v2, v2, 24
	v_add_nc_u32_e32 v3, v4, v3
	v_add_co_u32 v4, vcc_lo, v0, v2
	v_add_co_ci_u32_e64 v5, null, v1, v3, vcc_lo
	global_store_dwordx2 v[4:5], v[14:15], off
	s_waitcnt_vscnt null, 0x0
	global_atomic_cmpswap_x2 v[2:3], v6, v[12:15], s[6:7] offset:32 glc
	s_waitcnt vmcnt(0)
	v_cmpx_ne_u64_e64 v[2:3], v[14:15]
	s_cbranch_execz .LBB6_251
; %bb.249:
	s_mov_b32 s11, 0
.LBB6_250:                              ; =>This Inner Loop Header: Depth=1
	v_mov_b32_e32 v0, s8
	v_mov_b32_e32 v1, s9
	s_sleep 1
	global_store_dwordx2 v[4:5], v[2:3], off
	s_waitcnt_vscnt null, 0x0
	global_atomic_cmpswap_x2 v[0:1], v6, v[0:3], s[6:7] offset:32 glc
	s_waitcnt vmcnt(0)
	v_cmp_eq_u64_e32 vcc_lo, v[0:1], v[2:3]
	v_mov_b32_e32 v3, v1
	v_mov_b32_e32 v2, v0
	s_or_b32 s11, vcc_lo, s11
	s_andn2_b32 exec_lo, exec_lo, s11
	s_cbranch_execnz .LBB6_250
.LBB6_251:
	s_or_b32 exec_lo, exec_lo, s10
	v_mov_b32_e32 v3, 0
	s_mov_b32 s11, exec_lo
	s_mov_b32 s10, exec_lo
	v_mbcnt_lo_u32_b32 v2, s11, 0
	global_load_dwordx2 v[0:1], v3, s[6:7] offset:16
	v_cmpx_eq_u32_e32 0, v2
	s_cbranch_execz .LBB6_253
; %bb.252:
	s_bcnt1_i32_b32 s11, s11
	v_mov_b32_e32 v2, s11
	s_waitcnt vmcnt(0)
	global_atomic_add_x2 v[0:1], v[2:3], off offset:8
.LBB6_253:
	s_or_b32 exec_lo, exec_lo, s10
	s_waitcnt vmcnt(0)
	global_load_dwordx2 v[2:3], v[0:1], off offset:16
	s_waitcnt vmcnt(0)
	v_cmp_eq_u64_e32 vcc_lo, 0, v[2:3]
	s_cbranch_vccnz .LBB6_255
; %bb.254:
	global_load_dword v0, v[0:1], off offset:24
	v_mov_b32_e32 v1, 0
	s_waitcnt vmcnt(0)
	v_readfirstlane_b32 s10, v0
	s_waitcnt_vscnt null, 0x0
	global_store_dwordx2 v[2:3], v[0:1], off
	s_and_b32 m0, s10, 0x7fffff
	s_sendmsg sendmsg(MSG_INTERRUPT)
.LBB6_255:
	s_or_b32 exec_lo, exec_lo, s5
	s_branch .LBB6_259
.LBB6_256:                              ;   in Loop: Header=BB6_259 Depth=1
	s_or_b32 exec_lo, exec_lo, s5
	v_readfirstlane_b32 s5, v0
	s_cmp_eq_u32 s5, 0
	s_cbranch_scc1 .LBB6_258
; %bb.257:                              ;   in Loop: Header=BB6_259 Depth=1
	s_sleep 1
	s_cbranch_execnz .LBB6_259
	s_branch .LBB6_261
.LBB6_258:
	s_branch .LBB6_261
.LBB6_259:                              ; =>This Inner Loop Header: Depth=1
	v_mov_b32_e32 v0, 1
	s_and_saveexec_b32 s5, s4
	s_cbranch_execz .LBB6_256
; %bb.260:                              ;   in Loop: Header=BB6_259 Depth=1
	global_load_dword v0, v[8:9], off offset:20 glc dlc
	s_waitcnt vmcnt(0)
	buffer_gl1_inv
	buffer_gl0_inv
	v_and_b32_e32 v0, 1, v0
	s_branch .LBB6_256
.LBB6_261:
	global_load_dwordx2 v[0:1], v[10:11], off
	s_and_saveexec_b32 s10, s4
	s_cbranch_execz .LBB6_265
; %bb.262:
	v_mov_b32_e32 v8, 0
	s_clause 0x2
	global_load_dwordx2 v[2:3], v8, s[6:7] offset:40
	global_load_dwordx2 v[11:12], v8, s[6:7] offset:24 glc dlc
	global_load_dwordx2 v[4:5], v8, s[6:7]
	s_waitcnt vmcnt(2)
	v_readfirstlane_b32 s12, v2
	v_readfirstlane_b32 s13, v3
	s_add_u32 s11, s12, 1
	s_addc_u32 s14, s13, 0
	s_add_u32 s4, s11, s8
	s_addc_u32 s5, s14, s9
	s_cmp_eq_u64 s[4:5], 0
	s_cselect_b32 s5, s14, s5
	s_cselect_b32 s4, s11, s4
	v_mov_b32_e32 v10, s5
	s_and_b64 s[8:9], s[4:5], s[12:13]
	v_mov_b32_e32 v9, s4
	s_mul_i32 s9, s9, 24
	s_mul_hi_u32 s11, s8, 24
	s_mul_i32 s8, s8, 24
	s_add_i32 s11, s11, s9
	s_waitcnt vmcnt(0)
	v_add_co_u32 v6, vcc_lo, v4, s8
	v_add_co_ci_u32_e64 v7, null, s11, v5, vcc_lo
	global_store_dwordx2 v[6:7], v[11:12], off
	s_waitcnt_vscnt null, 0x0
	global_atomic_cmpswap_x2 v[4:5], v8, v[9:12], s[6:7] offset:24 glc
	s_waitcnt vmcnt(0)
	v_cmp_ne_u64_e32 vcc_lo, v[4:5], v[11:12]
	s_and_b32 exec_lo, exec_lo, vcc_lo
	s_cbranch_execz .LBB6_265
; %bb.263:
	s_mov_b32 s8, 0
.LBB6_264:                              ; =>This Inner Loop Header: Depth=1
	v_mov_b32_e32 v2, s4
	v_mov_b32_e32 v3, s5
	s_sleep 1
	global_store_dwordx2 v[6:7], v[4:5], off
	s_waitcnt_vscnt null, 0x0
	global_atomic_cmpswap_x2 v[2:3], v8, v[2:5], s[6:7] offset:24 glc
	s_waitcnt vmcnt(0)
	v_cmp_eq_u64_e32 vcc_lo, v[2:3], v[4:5]
	v_mov_b32_e32 v5, v3
	v_mov_b32_e32 v4, v2
	s_or_b32 s8, vcc_lo, s8
	s_andn2_b32 exec_lo, exec_lo, s8
	s_cbranch_execnz .LBB6_264
.LBB6_265:
	s_or_b32 exec_lo, exec_lo, s10
	s_getpc_b64 s[8:9]
	s_add_u32 s8, s8, .str.28@rel32@lo+4
	s_addc_u32 s9, s9, .str.28@rel32@hi+12
	s_cmp_lg_u64 s[8:9], 0
	s_cbranch_scc0 .LBB6_351
; %bb.266:
	s_waitcnt vmcnt(0)
	v_and_b32_e32 v6, -3, v0
	v_mov_b32_e32 v7, v1
	v_mov_b32_e32 v3, 0
	;; [unrolled: 1-line block ×4, first 2 shown]
	s_mov_b64 s[10:11], 35
	s_branch .LBB6_268
.LBB6_267:                              ;   in Loop: Header=BB6_268 Depth=1
	s_or_b32 exec_lo, exec_lo, s16
	s_sub_u32 s10, s10, s12
	s_subb_u32 s11, s11, s13
	s_add_u32 s8, s8, s12
	s_addc_u32 s9, s9, s13
	s_cmp_lg_u64 s[10:11], 0
	s_cbranch_scc0 .LBB6_350
.LBB6_268:                              ; =>This Loop Header: Depth=1
                                        ;     Child Loop BB6_271 Depth 2
                                        ;     Child Loop BB6_279 Depth 2
	;; [unrolled: 1-line block ×11, first 2 shown]
	v_cmp_lt_u64_e64 s4, s[10:11], 56
	v_cmp_gt_u64_e64 s14, s[10:11], 7
	s_and_b32 s4, s4, exec_lo
	s_cselect_b32 s13, s11, 0
	s_cselect_b32 s12, s10, 56
	s_add_u32 s4, s8, 8
	s_addc_u32 s5, s9, 0
	s_and_b32 vcc_lo, exec_lo, s14
	s_cbranch_vccnz .LBB6_273
; %bb.269:                              ;   in Loop: Header=BB6_268 Depth=1
	s_waitcnt vmcnt(0)
	v_mov_b32_e32 v8, 0
	v_mov_b32_e32 v9, 0
	s_cmp_eq_u64 s[10:11], 0
	s_cbranch_scc1 .LBB6_272
; %bb.270:                              ;   in Loop: Header=BB6_268 Depth=1
	s_lshl_b64 s[4:5], s[12:13], 3
	s_mov_b64 s[14:15], 0
	s_mov_b64 s[16:17], s[8:9]
.LBB6_271:                              ;   Parent Loop BB6_268 Depth=1
                                        ; =>  This Inner Loop Header: Depth=2
	global_load_ubyte v2, v3, s[16:17]
	s_waitcnt vmcnt(0)
	v_and_b32_e32 v2, 0xffff, v2
	v_lshlrev_b64 v[10:11], s14, v[2:3]
	s_add_u32 s14, s14, 8
	s_addc_u32 s15, s15, 0
	s_add_u32 s16, s16, 1
	s_addc_u32 s17, s17, 0
	s_cmp_lg_u32 s4, s14
	v_or_b32_e32 v8, v10, v8
	v_or_b32_e32 v9, v11, v9
	s_cbranch_scc1 .LBB6_271
.LBB6_272:                              ;   in Loop: Header=BB6_268 Depth=1
	s_mov_b32 s14, 0
	s_mov_b64 s[4:5], s[8:9]
	s_branch .LBB6_274
.LBB6_273:                              ;   in Loop: Header=BB6_268 Depth=1
	s_mov_b32 s14, -1
.LBB6_274:                              ;   in Loop: Header=BB6_268 Depth=1
	s_andn2_b32 vcc_lo, exec_lo, s14
	s_mov_b32 s18, 0
	s_cbranch_vccnz .LBB6_276
; %bb.275:                              ;   in Loop: Header=BB6_268 Depth=1
	global_load_dwordx2 v[8:9], v3, s[8:9]
	s_add_i32 s18, s12, -8
.LBB6_276:                              ;   in Loop: Header=BB6_268 Depth=1
	s_add_u32 s14, s4, 8
	s_addc_u32 s15, s5, 0
	s_cmp_gt_u32 s18, 7
	s_cbranch_scc1 .LBB6_281
; %bb.277:                              ;   in Loop: Header=BB6_268 Depth=1
	v_mov_b32_e32 v10, 0
	v_mov_b32_e32 v11, 0
	s_cmp_eq_u32 s18, 0
	s_cbranch_scc1 .LBB6_280
; %bb.278:                              ;   in Loop: Header=BB6_268 Depth=1
	s_mov_b64 s[14:15], 0
	s_mov_b64 s[16:17], 0
.LBB6_279:                              ;   Parent Loop BB6_268 Depth=1
                                        ; =>  This Inner Loop Header: Depth=2
	s_add_u32 s44, s4, s16
	s_addc_u32 s45, s5, s17
	s_add_u32 s16, s16, 1
	global_load_ubyte v2, v3, s[44:45]
	s_addc_u32 s17, s17, 0
	s_waitcnt vmcnt(0)
	v_and_b32_e32 v2, 0xffff, v2
	v_lshlrev_b64 v[12:13], s14, v[2:3]
	s_add_u32 s14, s14, 8
	s_addc_u32 s15, s15, 0
	s_cmp_lg_u32 s18, s16
	v_or_b32_e32 v10, v12, v10
	v_or_b32_e32 v11, v13, v11
	s_cbranch_scc1 .LBB6_279
.LBB6_280:                              ;   in Loop: Header=BB6_268 Depth=1
	s_mov_b32 s16, 0
	s_mov_b64 s[14:15], s[4:5]
	s_branch .LBB6_282
.LBB6_281:                              ;   in Loop: Header=BB6_268 Depth=1
	s_mov_b32 s16, -1
                                        ; implicit-def: $vgpr10_vgpr11
.LBB6_282:                              ;   in Loop: Header=BB6_268 Depth=1
	s_andn2_b32 vcc_lo, exec_lo, s16
	s_mov_b32 s19, 0
	s_cbranch_vccnz .LBB6_284
; %bb.283:                              ;   in Loop: Header=BB6_268 Depth=1
	global_load_dwordx2 v[10:11], v3, s[4:5]
	s_add_i32 s19, s18, -8
.LBB6_284:                              ;   in Loop: Header=BB6_268 Depth=1
	s_add_u32 s4, s14, 8
	s_addc_u32 s5, s15, 0
	s_cmp_gt_u32 s19, 7
	s_cbranch_scc1 .LBB6_289
; %bb.285:                              ;   in Loop: Header=BB6_268 Depth=1
	v_mov_b32_e32 v12, 0
	v_mov_b32_e32 v13, 0
	s_cmp_eq_u32 s19, 0
	s_cbranch_scc1 .LBB6_288
; %bb.286:                              ;   in Loop: Header=BB6_268 Depth=1
	s_mov_b64 s[4:5], 0
	s_mov_b64 s[16:17], 0
.LBB6_287:                              ;   Parent Loop BB6_268 Depth=1
                                        ; =>  This Inner Loop Header: Depth=2
	s_add_u32 s44, s14, s16
	s_addc_u32 s45, s15, s17
	s_add_u32 s16, s16, 1
	global_load_ubyte v2, v3, s[44:45]
	s_addc_u32 s17, s17, 0
	s_waitcnt vmcnt(0)
	v_and_b32_e32 v2, 0xffff, v2
	v_lshlrev_b64 v[14:15], s4, v[2:3]
	s_add_u32 s4, s4, 8
	s_addc_u32 s5, s5, 0
	s_cmp_lg_u32 s19, s16
	v_or_b32_e32 v12, v14, v12
	v_or_b32_e32 v13, v15, v13
	s_cbranch_scc1 .LBB6_287
.LBB6_288:                              ;   in Loop: Header=BB6_268 Depth=1
	s_mov_b32 s16, 0
	s_mov_b64 s[4:5], s[14:15]
	s_branch .LBB6_290
.LBB6_289:                              ;   in Loop: Header=BB6_268 Depth=1
	s_mov_b32 s16, -1
.LBB6_290:                              ;   in Loop: Header=BB6_268 Depth=1
	s_andn2_b32 vcc_lo, exec_lo, s16
	s_mov_b32 s18, 0
	s_cbranch_vccnz .LBB6_292
; %bb.291:                              ;   in Loop: Header=BB6_268 Depth=1
	global_load_dwordx2 v[12:13], v3, s[14:15]
	s_add_i32 s18, s19, -8
.LBB6_292:                              ;   in Loop: Header=BB6_268 Depth=1
	s_add_u32 s14, s4, 8
	s_addc_u32 s15, s5, 0
	s_cmp_gt_u32 s18, 7
	s_cbranch_scc1 .LBB6_297
; %bb.293:                              ;   in Loop: Header=BB6_268 Depth=1
	v_mov_b32_e32 v14, 0
	v_mov_b32_e32 v15, 0
	s_cmp_eq_u32 s18, 0
	s_cbranch_scc1 .LBB6_296
; %bb.294:                              ;   in Loop: Header=BB6_268 Depth=1
	s_mov_b64 s[14:15], 0
	s_mov_b64 s[16:17], 0
.LBB6_295:                              ;   Parent Loop BB6_268 Depth=1
                                        ; =>  This Inner Loop Header: Depth=2
	s_add_u32 s44, s4, s16
	s_addc_u32 s45, s5, s17
	s_add_u32 s16, s16, 1
	global_load_ubyte v2, v3, s[44:45]
	s_addc_u32 s17, s17, 0
	s_waitcnt vmcnt(0)
	v_and_b32_e32 v2, 0xffff, v2
	v_lshlrev_b64 v[16:17], s14, v[2:3]
	s_add_u32 s14, s14, 8
	s_addc_u32 s15, s15, 0
	s_cmp_lg_u32 s18, s16
	v_or_b32_e32 v14, v16, v14
	v_or_b32_e32 v15, v17, v15
	s_cbranch_scc1 .LBB6_295
.LBB6_296:                              ;   in Loop: Header=BB6_268 Depth=1
	s_mov_b32 s16, 0
	s_mov_b64 s[14:15], s[4:5]
	s_branch .LBB6_298
.LBB6_297:                              ;   in Loop: Header=BB6_268 Depth=1
	s_mov_b32 s16, -1
                                        ; implicit-def: $vgpr14_vgpr15
.LBB6_298:                              ;   in Loop: Header=BB6_268 Depth=1
	s_andn2_b32 vcc_lo, exec_lo, s16
	s_mov_b32 s19, 0
	s_cbranch_vccnz .LBB6_300
; %bb.299:                              ;   in Loop: Header=BB6_268 Depth=1
	global_load_dwordx2 v[14:15], v3, s[4:5]
	s_add_i32 s19, s18, -8
.LBB6_300:                              ;   in Loop: Header=BB6_268 Depth=1
	s_add_u32 s4, s14, 8
	s_addc_u32 s5, s15, 0
	s_cmp_gt_u32 s19, 7
	s_cbranch_scc1 .LBB6_305
; %bb.301:                              ;   in Loop: Header=BB6_268 Depth=1
	v_mov_b32_e32 v16, 0
	v_mov_b32_e32 v17, 0
	s_cmp_eq_u32 s19, 0
	s_cbranch_scc1 .LBB6_304
; %bb.302:                              ;   in Loop: Header=BB6_268 Depth=1
	s_mov_b64 s[4:5], 0
	s_mov_b64 s[16:17], 0
.LBB6_303:                              ;   Parent Loop BB6_268 Depth=1
                                        ; =>  This Inner Loop Header: Depth=2
	s_add_u32 s44, s14, s16
	s_addc_u32 s45, s15, s17
	s_add_u32 s16, s16, 1
	global_load_ubyte v2, v3, s[44:45]
	s_addc_u32 s17, s17, 0
	s_waitcnt vmcnt(0)
	v_and_b32_e32 v2, 0xffff, v2
	v_lshlrev_b64 v[18:19], s4, v[2:3]
	s_add_u32 s4, s4, 8
	s_addc_u32 s5, s5, 0
	s_cmp_lg_u32 s19, s16
	v_or_b32_e32 v16, v18, v16
	v_or_b32_e32 v17, v19, v17
	s_cbranch_scc1 .LBB6_303
.LBB6_304:                              ;   in Loop: Header=BB6_268 Depth=1
	s_mov_b32 s16, 0
	s_mov_b64 s[4:5], s[14:15]
	s_branch .LBB6_306
.LBB6_305:                              ;   in Loop: Header=BB6_268 Depth=1
	s_mov_b32 s16, -1
.LBB6_306:                              ;   in Loop: Header=BB6_268 Depth=1
	s_andn2_b32 vcc_lo, exec_lo, s16
	s_mov_b32 s18, 0
	s_cbranch_vccnz .LBB6_308
; %bb.307:                              ;   in Loop: Header=BB6_268 Depth=1
	global_load_dwordx2 v[16:17], v3, s[14:15]
	s_add_i32 s18, s19, -8
.LBB6_308:                              ;   in Loop: Header=BB6_268 Depth=1
	s_add_u32 s14, s4, 8
	s_addc_u32 s15, s5, 0
	s_cmp_gt_u32 s18, 7
	s_cbranch_scc1 .LBB6_313
; %bb.309:                              ;   in Loop: Header=BB6_268 Depth=1
	v_mov_b32_e32 v18, 0
	v_mov_b32_e32 v19, 0
	s_cmp_eq_u32 s18, 0
	s_cbranch_scc1 .LBB6_312
; %bb.310:                              ;   in Loop: Header=BB6_268 Depth=1
	s_mov_b64 s[14:15], 0
	s_mov_b64 s[16:17], 0
.LBB6_311:                              ;   Parent Loop BB6_268 Depth=1
                                        ; =>  This Inner Loop Header: Depth=2
	s_add_u32 s44, s4, s16
	s_addc_u32 s45, s5, s17
	s_add_u32 s16, s16, 1
	global_load_ubyte v2, v3, s[44:45]
	s_addc_u32 s17, s17, 0
	s_waitcnt vmcnt(0)
	v_and_b32_e32 v2, 0xffff, v2
	v_lshlrev_b64 v[20:21], s14, v[2:3]
	s_add_u32 s14, s14, 8
	s_addc_u32 s15, s15, 0
	s_cmp_lg_u32 s18, s16
	v_or_b32_e32 v18, v20, v18
	v_or_b32_e32 v19, v21, v19
	s_cbranch_scc1 .LBB6_311
.LBB6_312:                              ;   in Loop: Header=BB6_268 Depth=1
	s_mov_b32 s16, 0
	s_mov_b64 s[14:15], s[4:5]
	s_branch .LBB6_314
.LBB6_313:                              ;   in Loop: Header=BB6_268 Depth=1
	s_mov_b32 s16, -1
                                        ; implicit-def: $vgpr18_vgpr19
.LBB6_314:                              ;   in Loop: Header=BB6_268 Depth=1
	s_andn2_b32 vcc_lo, exec_lo, s16
	s_mov_b32 s19, 0
	s_cbranch_vccnz .LBB6_316
; %bb.315:                              ;   in Loop: Header=BB6_268 Depth=1
	global_load_dwordx2 v[18:19], v3, s[4:5]
	s_add_i32 s19, s18, -8
.LBB6_316:                              ;   in Loop: Header=BB6_268 Depth=1
	s_cmp_gt_u32 s19, 7
	s_cbranch_scc1 .LBB6_321
; %bb.317:                              ;   in Loop: Header=BB6_268 Depth=1
	v_mov_b32_e32 v20, 0
	v_mov_b32_e32 v21, 0
	s_cmp_eq_u32 s19, 0
	s_cbranch_scc1 .LBB6_320
; %bb.318:                              ;   in Loop: Header=BB6_268 Depth=1
	s_mov_b64 s[4:5], 0
	s_mov_b64 s[16:17], s[14:15]
.LBB6_319:                              ;   Parent Loop BB6_268 Depth=1
                                        ; =>  This Inner Loop Header: Depth=2
	global_load_ubyte v2, v3, s[16:17]
	s_add_i32 s19, s19, -1
	s_waitcnt vmcnt(0)
	v_and_b32_e32 v2, 0xffff, v2
	v_lshlrev_b64 v[22:23], s4, v[2:3]
	s_add_u32 s4, s4, 8
	s_addc_u32 s5, s5, 0
	s_add_u32 s16, s16, 1
	s_addc_u32 s17, s17, 0
	s_cmp_lg_u32 s19, 0
	v_or_b32_e32 v20, v22, v20
	v_or_b32_e32 v21, v23, v21
	s_cbranch_scc1 .LBB6_319
.LBB6_320:                              ;   in Loop: Header=BB6_268 Depth=1
	s_mov_b32 s4, 0
	s_branch .LBB6_322
.LBB6_321:                              ;   in Loop: Header=BB6_268 Depth=1
	s_mov_b32 s4, -1
.LBB6_322:                              ;   in Loop: Header=BB6_268 Depth=1
	s_andn2_b32 vcc_lo, exec_lo, s4
	s_cbranch_vccnz .LBB6_324
; %bb.323:                              ;   in Loop: Header=BB6_268 Depth=1
	global_load_dwordx2 v[20:21], v3, s[14:15]
.LBB6_324:                              ;   in Loop: Header=BB6_268 Depth=1
	v_readfirstlane_b32 s4, v29
	v_mov_b32_e32 v26, 0
	v_mov_b32_e32 v27, 0
	v_cmp_eq_u32_e64 s4, s4, v29
	s_and_saveexec_b32 s5, s4
	s_cbranch_execz .LBB6_330
; %bb.325:                              ;   in Loop: Header=BB6_268 Depth=1
	global_load_dwordx2 v[24:25], v3, s[6:7] offset:24 glc dlc
	s_waitcnt vmcnt(0)
	buffer_gl1_inv
	buffer_gl0_inv
	s_clause 0x1
	global_load_dwordx2 v[22:23], v3, s[6:7] offset:40
	global_load_dwordx2 v[26:27], v3, s[6:7]
	s_mov_b32 s14, exec_lo
	s_waitcnt vmcnt(1)
	v_and_b32_e32 v2, v23, v25
	v_and_b32_e32 v22, v22, v24
	v_mul_lo_u32 v2, v2, 24
	v_mul_hi_u32 v23, v22, 24
	v_mul_lo_u32 v22, v22, 24
	v_add_nc_u32_e32 v2, v23, v2
	s_waitcnt vmcnt(0)
	v_add_co_u32 v22, vcc_lo, v26, v22
	v_add_co_ci_u32_e64 v23, null, v27, v2, vcc_lo
	global_load_dwordx2 v[22:23], v[22:23], off glc dlc
	s_waitcnt vmcnt(0)
	global_atomic_cmpswap_x2 v[26:27], v3, v[22:25], s[6:7] offset:24 glc
	s_waitcnt vmcnt(0)
	buffer_gl1_inv
	buffer_gl0_inv
	v_cmpx_ne_u64_e64 v[26:27], v[24:25]
	s_cbranch_execz .LBB6_329
; %bb.326:                              ;   in Loop: Header=BB6_268 Depth=1
	s_mov_b32 s15, 0
	.p2align	6
.LBB6_327:                              ;   Parent Loop BB6_268 Depth=1
                                        ; =>  This Inner Loop Header: Depth=2
	s_sleep 1
	s_clause 0x1
	global_load_dwordx2 v[22:23], v3, s[6:7] offset:40
	global_load_dwordx2 v[30:31], v3, s[6:7]
	v_mov_b32_e32 v24, v26
	v_mov_b32_e32 v25, v27
	s_waitcnt vmcnt(1)
	v_and_b32_e32 v2, v22, v24
	v_and_b32_e32 v22, v23, v25
	s_waitcnt vmcnt(0)
	v_mad_u64_u32 v[26:27], null, v2, 24, v[30:31]
	v_mov_b32_e32 v2, v27
	v_mad_u64_u32 v[22:23], null, v22, 24, v[2:3]
	v_mov_b32_e32 v27, v22
	global_load_dwordx2 v[22:23], v[26:27], off glc dlc
	s_waitcnt vmcnt(0)
	global_atomic_cmpswap_x2 v[26:27], v3, v[22:25], s[6:7] offset:24 glc
	s_waitcnt vmcnt(0)
	buffer_gl1_inv
	buffer_gl0_inv
	v_cmp_eq_u64_e32 vcc_lo, v[26:27], v[24:25]
	s_or_b32 s15, vcc_lo, s15
	s_andn2_b32 exec_lo, exec_lo, s15
	s_cbranch_execnz .LBB6_327
; %bb.328:                              ;   in Loop: Header=BB6_268 Depth=1
	s_or_b32 exec_lo, exec_lo, s15
.LBB6_329:                              ;   in Loop: Header=BB6_268 Depth=1
	s_or_b32 exec_lo, exec_lo, s14
.LBB6_330:                              ;   in Loop: Header=BB6_268 Depth=1
	s_or_b32 exec_lo, exec_lo, s5
	s_clause 0x1
	global_load_dwordx2 v[30:31], v3, s[6:7] offset:40
	global_load_dwordx4 v[22:25], v3, s[6:7]
	v_readfirstlane_b32 s15, v27
	v_readfirstlane_b32 s14, v26
	s_mov_b32 s5, exec_lo
	s_waitcnt vmcnt(1)
	v_readfirstlane_b32 s16, v30
	v_readfirstlane_b32 s17, v31
	s_and_b64 s[16:17], s[16:17], s[14:15]
	s_mul_i32 s18, s17, 24
	s_mul_hi_u32 s19, s16, 24
	s_mul_i32 s20, s16, 24
	s_add_i32 s19, s19, s18
	s_waitcnt vmcnt(0)
	v_add_co_u32 v26, vcc_lo, v22, s20
	v_add_co_ci_u32_e64 v27, null, s19, v23, vcc_lo
	s_and_saveexec_b32 s18, s4
	s_cbranch_execz .LBB6_332
; %bb.331:                              ;   in Loop: Header=BB6_268 Depth=1
	v_mov_b32_e32 v2, s5
	global_store_dwordx4 v[26:27], v[2:5], off offset:8
.LBB6_332:                              ;   in Loop: Header=BB6_268 Depth=1
	s_or_b32 exec_lo, exec_lo, s18
	v_cmp_gt_u64_e64 s5, s[10:11], 56
	s_lshl_b64 s[16:17], s[16:17], 12
	v_and_b32_e32 v2, 0xffffff1f, v6
	v_add_co_u32 v24, vcc_lo, v24, s16
	v_add_co_ci_u32_e64 v25, null, s17, v25, vcc_lo
	s_and_b32 s5, s5, exec_lo
	s_cselect_b32 s5, 0, 2
	s_lshl_b32 s18, s12, 2
	v_or_b32_e32 v2, s5, v2
	v_readfirstlane_b32 s16, v24
	v_readfirstlane_b32 s17, v25
	s_add_i32 s18, s18, 28
	v_and_or_b32 v6, 0x1e0, s18, v2
	global_store_dwordx4 v28, v[10:13], s[16:17] offset:16
	global_store_dwordx4 v28, v[14:17], s[16:17] offset:32
	global_store_dwordx4 v28, v[6:9], s[16:17]
	global_store_dwordx4 v28, v[18:21], s[16:17] offset:48
	s_and_saveexec_b32 s5, s4
	s_cbranch_execz .LBB6_340
; %bb.333:                              ;   in Loop: Header=BB6_268 Depth=1
	s_clause 0x1
	global_load_dwordx2 v[14:15], v3, s[6:7] offset:32 glc dlc
	global_load_dwordx2 v[6:7], v3, s[6:7] offset:40
	v_mov_b32_e32 v12, s14
	v_mov_b32_e32 v13, s15
	s_waitcnt vmcnt(0)
	v_readfirstlane_b32 s16, v6
	v_readfirstlane_b32 s17, v7
	s_and_b64 s[16:17], s[16:17], s[14:15]
	s_mul_i32 s17, s17, 24
	s_mul_hi_u32 s18, s16, 24
	s_mul_i32 s16, s16, 24
	s_add_i32 s18, s18, s17
	v_add_co_u32 v10, vcc_lo, v22, s16
	v_add_co_ci_u32_e64 v11, null, s18, v23, vcc_lo
	s_mov_b32 s16, exec_lo
	global_store_dwordx2 v[10:11], v[14:15], off
	s_waitcnt_vscnt null, 0x0
	global_atomic_cmpswap_x2 v[8:9], v3, v[12:15], s[6:7] offset:32 glc
	s_waitcnt vmcnt(0)
	v_cmpx_ne_u64_e64 v[8:9], v[14:15]
	s_cbranch_execz .LBB6_336
; %bb.334:                              ;   in Loop: Header=BB6_268 Depth=1
	s_mov_b32 s17, 0
.LBB6_335:                              ;   Parent Loop BB6_268 Depth=1
                                        ; =>  This Inner Loop Header: Depth=2
	v_mov_b32_e32 v6, s14
	v_mov_b32_e32 v7, s15
	s_sleep 1
	global_store_dwordx2 v[10:11], v[8:9], off
	s_waitcnt_vscnt null, 0x0
	global_atomic_cmpswap_x2 v[6:7], v3, v[6:9], s[6:7] offset:32 glc
	s_waitcnt vmcnt(0)
	v_cmp_eq_u64_e32 vcc_lo, v[6:7], v[8:9]
	v_mov_b32_e32 v9, v7
	v_mov_b32_e32 v8, v6
	s_or_b32 s17, vcc_lo, s17
	s_andn2_b32 exec_lo, exec_lo, s17
	s_cbranch_execnz .LBB6_335
.LBB6_336:                              ;   in Loop: Header=BB6_268 Depth=1
	s_or_b32 exec_lo, exec_lo, s16
	global_load_dwordx2 v[6:7], v3, s[6:7] offset:16
	s_mov_b32 s17, exec_lo
	s_mov_b32 s16, exec_lo
	v_mbcnt_lo_u32_b32 v2, s17, 0
	v_cmpx_eq_u32_e32 0, v2
	s_cbranch_execz .LBB6_338
; %bb.337:                              ;   in Loop: Header=BB6_268 Depth=1
	s_bcnt1_i32_b32 s17, s17
	v_mov_b32_e32 v2, s17
	s_waitcnt vmcnt(0)
	global_atomic_add_x2 v[6:7], v[2:3], off offset:8
.LBB6_338:                              ;   in Loop: Header=BB6_268 Depth=1
	s_or_b32 exec_lo, exec_lo, s16
	s_waitcnt vmcnt(0)
	global_load_dwordx2 v[8:9], v[6:7], off offset:16
	s_waitcnt vmcnt(0)
	v_cmp_eq_u64_e32 vcc_lo, 0, v[8:9]
	s_cbranch_vccnz .LBB6_340
; %bb.339:                              ;   in Loop: Header=BB6_268 Depth=1
	global_load_dword v2, v[6:7], off offset:24
	s_waitcnt vmcnt(0)
	v_readfirstlane_b32 s16, v2
	s_waitcnt_vscnt null, 0x0
	global_store_dwordx2 v[8:9], v[2:3], off
	s_and_b32 m0, s16, 0x7fffff
	s_sendmsg sendmsg(MSG_INTERRUPT)
.LBB6_340:                              ;   in Loop: Header=BB6_268 Depth=1
	s_or_b32 exec_lo, exec_lo, s5
	v_add_co_u32 v6, vcc_lo, v24, v28
	v_add_co_ci_u32_e64 v7, null, 0, v25, vcc_lo
	s_branch .LBB6_344
	.p2align	6
.LBB6_341:                              ;   in Loop: Header=BB6_344 Depth=2
	s_or_b32 exec_lo, exec_lo, s5
	v_readfirstlane_b32 s5, v2
	s_cmp_eq_u32 s5, 0
	s_cbranch_scc1 .LBB6_343
; %bb.342:                              ;   in Loop: Header=BB6_344 Depth=2
	s_sleep 1
	s_cbranch_execnz .LBB6_344
	s_branch .LBB6_346
	.p2align	6
.LBB6_343:                              ;   in Loop: Header=BB6_268 Depth=1
	s_branch .LBB6_346
.LBB6_344:                              ;   Parent Loop BB6_268 Depth=1
                                        ; =>  This Inner Loop Header: Depth=2
	v_mov_b32_e32 v2, 1
	s_and_saveexec_b32 s5, s4
	s_cbranch_execz .LBB6_341
; %bb.345:                              ;   in Loop: Header=BB6_344 Depth=2
	global_load_dword v2, v[26:27], off offset:20 glc dlc
	s_waitcnt vmcnt(0)
	buffer_gl1_inv
	buffer_gl0_inv
	v_and_b32_e32 v2, 1, v2
	s_branch .LBB6_341
.LBB6_346:                              ;   in Loop: Header=BB6_268 Depth=1
	global_load_dwordx4 v[6:9], v[6:7], off
	s_and_saveexec_b32 s16, s4
	s_cbranch_execz .LBB6_267
; %bb.347:                              ;   in Loop: Header=BB6_268 Depth=1
	s_clause 0x2
	global_load_dwordx2 v[8:9], v3, s[6:7] offset:40
	global_load_dwordx2 v[16:17], v3, s[6:7] offset:24 glc dlc
	global_load_dwordx2 v[10:11], v3, s[6:7]
	s_waitcnt vmcnt(2)
	v_readfirstlane_b32 s18, v8
	v_readfirstlane_b32 s19, v9
	s_add_u32 s17, s18, 1
	s_addc_u32 s20, s19, 0
	s_add_u32 s4, s17, s14
	s_addc_u32 s5, s20, s15
	s_cmp_eq_u64 s[4:5], 0
	s_cselect_b32 s5, s20, s5
	s_cselect_b32 s4, s17, s4
	v_mov_b32_e32 v15, s5
	s_and_b64 s[14:15], s[4:5], s[18:19]
	v_mov_b32_e32 v14, s4
	s_mul_i32 s15, s15, 24
	s_mul_hi_u32 s17, s14, 24
	s_mul_i32 s14, s14, 24
	s_add_i32 s17, s17, s15
	s_waitcnt vmcnt(0)
	v_add_co_u32 v12, vcc_lo, v10, s14
	v_add_co_ci_u32_e64 v13, null, s17, v11, vcc_lo
	global_store_dwordx2 v[12:13], v[16:17], off
	s_waitcnt_vscnt null, 0x0
	global_atomic_cmpswap_x2 v[10:11], v3, v[14:17], s[6:7] offset:24 glc
	s_waitcnt vmcnt(0)
	v_cmp_ne_u64_e32 vcc_lo, v[10:11], v[16:17]
	s_and_b32 exec_lo, exec_lo, vcc_lo
	s_cbranch_execz .LBB6_267
; %bb.348:                              ;   in Loop: Header=BB6_268 Depth=1
	s_mov_b32 s14, 0
.LBB6_349:                              ;   Parent Loop BB6_268 Depth=1
                                        ; =>  This Inner Loop Header: Depth=2
	v_mov_b32_e32 v8, s4
	v_mov_b32_e32 v9, s5
	s_sleep 1
	global_store_dwordx2 v[12:13], v[10:11], off
	s_waitcnt_vscnt null, 0x0
	global_atomic_cmpswap_x2 v[8:9], v3, v[8:11], s[6:7] offset:24 glc
	s_waitcnt vmcnt(0)
	v_cmp_eq_u64_e32 vcc_lo, v[8:9], v[10:11]
	v_mov_b32_e32 v11, v9
	v_mov_b32_e32 v10, v8
	s_or_b32 s14, vcc_lo, s14
	s_andn2_b32 exec_lo, exec_lo, s14
	s_cbranch_execnz .LBB6_349
	s_branch .LBB6_267
.LBB6_350:
	s_mov_b32 s4, 0
	s_branch .LBB6_352
.LBB6_351:
	s_mov_b32 s4, -1
.LBB6_352:
	s_and_b32 vcc_lo, exec_lo, s4
	s_cbranch_vccz .LBB6_380
; %bb.353:
	v_readfirstlane_b32 s4, v29
	s_waitcnt vmcnt(0)
	v_mov_b32_e32 v8, 0
	v_mov_b32_e32 v9, 0
	v_cmp_eq_u32_e64 s4, s4, v29
	s_and_saveexec_b32 s5, s4
	s_cbranch_execz .LBB6_359
; %bb.354:
	v_mov_b32_e32 v2, 0
	s_mov_b32 s8, exec_lo
	global_load_dwordx2 v[5:6], v2, s[6:7] offset:24 glc dlc
	s_waitcnt vmcnt(0)
	buffer_gl1_inv
	buffer_gl0_inv
	s_clause 0x1
	global_load_dwordx2 v[3:4], v2, s[6:7] offset:40
	global_load_dwordx2 v[7:8], v2, s[6:7]
	s_waitcnt vmcnt(1)
	v_and_b32_e32 v4, v4, v6
	v_and_b32_e32 v3, v3, v5
	v_mul_lo_u32 v4, v4, 24
	v_mul_hi_u32 v9, v3, 24
	v_mul_lo_u32 v3, v3, 24
	v_add_nc_u32_e32 v4, v9, v4
	s_waitcnt vmcnt(0)
	v_add_co_u32 v3, vcc_lo, v7, v3
	v_add_co_ci_u32_e64 v4, null, v8, v4, vcc_lo
	global_load_dwordx2 v[3:4], v[3:4], off glc dlc
	s_waitcnt vmcnt(0)
	global_atomic_cmpswap_x2 v[8:9], v2, v[3:6], s[6:7] offset:24 glc
	s_waitcnt vmcnt(0)
	buffer_gl1_inv
	buffer_gl0_inv
	v_cmpx_ne_u64_e64 v[8:9], v[5:6]
	s_cbranch_execz .LBB6_358
; %bb.355:
	s_mov_b32 s9, 0
.LBB6_356:                              ; =>This Inner Loop Header: Depth=1
	s_sleep 1
	s_clause 0x1
	global_load_dwordx2 v[3:4], v2, s[6:7] offset:40
	global_load_dwordx2 v[10:11], v2, s[6:7]
	v_mov_b32_e32 v5, v8
	v_mov_b32_e32 v6, v9
	s_waitcnt vmcnt(1)
	v_and_b32_e32 v3, v3, v5
	v_and_b32_e32 v4, v4, v6
	s_waitcnt vmcnt(0)
	v_mad_u64_u32 v[7:8], null, v3, 24, v[10:11]
	v_mov_b32_e32 v3, v8
	v_mad_u64_u32 v[3:4], null, v4, 24, v[3:4]
	v_mov_b32_e32 v8, v3
	global_load_dwordx2 v[3:4], v[7:8], off glc dlc
	s_waitcnt vmcnt(0)
	global_atomic_cmpswap_x2 v[8:9], v2, v[3:6], s[6:7] offset:24 glc
	s_waitcnt vmcnt(0)
	buffer_gl1_inv
	buffer_gl0_inv
	v_cmp_eq_u64_e32 vcc_lo, v[8:9], v[5:6]
	s_or_b32 s9, vcc_lo, s9
	s_andn2_b32 exec_lo, exec_lo, s9
	s_cbranch_execnz .LBB6_356
; %bb.357:
	s_or_b32 exec_lo, exec_lo, s9
.LBB6_358:
	s_or_b32 exec_lo, exec_lo, s8
.LBB6_359:
	s_or_b32 exec_lo, exec_lo, s5
	v_mov_b32_e32 v2, 0
	v_readfirstlane_b32 s9, v9
	v_readfirstlane_b32 s8, v8
	s_mov_b32 s5, exec_lo
	s_clause 0x1
	global_load_dwordx2 v[10:11], v2, s[6:7] offset:40
	global_load_dwordx4 v[4:7], v2, s[6:7]
	s_waitcnt vmcnt(1)
	v_readfirstlane_b32 s10, v10
	v_readfirstlane_b32 s11, v11
	s_and_b64 s[10:11], s[10:11], s[8:9]
	s_mul_i32 s12, s11, 24
	s_mul_hi_u32 s13, s10, 24
	s_mul_i32 s14, s10, 24
	s_add_i32 s13, s13, s12
	s_waitcnt vmcnt(0)
	v_add_co_u32 v8, vcc_lo, v4, s14
	v_add_co_ci_u32_e64 v9, null, s13, v5, vcc_lo
	s_and_saveexec_b32 s12, s4
	s_cbranch_execz .LBB6_361
; %bb.360:
	v_mov_b32_e32 v10, s5
	v_mov_b32_e32 v11, v2
	;; [unrolled: 1-line block ×4, first 2 shown]
	global_store_dwordx4 v[8:9], v[10:13], off offset:8
.LBB6_361:
	s_or_b32 exec_lo, exec_lo, s12
	s_lshl_b64 s[10:11], s[10:11], 12
	s_mov_b32 s12, 0
	v_add_co_u32 v6, vcc_lo, v6, s10
	v_add_co_ci_u32_e64 v7, null, s11, v7, vcc_lo
	s_mov_b32 s13, s12
	s_mov_b32 s14, s12
	;; [unrolled: 1-line block ×3, first 2 shown]
	v_and_or_b32 v0, 0xffffff1d, v0, 34
	v_mov_b32_e32 v3, v2
	v_readfirstlane_b32 s10, v6
	v_readfirstlane_b32 s11, v7
	v_mov_b32_e32 v10, s12
	v_mov_b32_e32 v11, s13
	;; [unrolled: 1-line block ×4, first 2 shown]
	global_store_dwordx4 v28, v[0:3], s[10:11]
	global_store_dwordx4 v28, v[10:13], s[10:11] offset:16
	global_store_dwordx4 v28, v[10:13], s[10:11] offset:32
	;; [unrolled: 1-line block ×3, first 2 shown]
	s_and_saveexec_b32 s5, s4
	s_cbranch_execz .LBB6_369
; %bb.362:
	v_mov_b32_e32 v6, 0
	v_mov_b32_e32 v10, s8
	;; [unrolled: 1-line block ×3, first 2 shown]
	s_clause 0x1
	global_load_dwordx2 v[12:13], v6, s[6:7] offset:32 glc dlc
	global_load_dwordx2 v[0:1], v6, s[6:7] offset:40
	s_waitcnt vmcnt(0)
	v_readfirstlane_b32 s10, v0
	v_readfirstlane_b32 s11, v1
	s_and_b64 s[10:11], s[10:11], s[8:9]
	s_mul_i32 s11, s11, 24
	s_mul_hi_u32 s12, s10, 24
	s_mul_i32 s10, s10, 24
	s_add_i32 s12, s12, s11
	v_add_co_u32 v4, vcc_lo, v4, s10
	v_add_co_ci_u32_e64 v5, null, s12, v5, vcc_lo
	s_mov_b32 s10, exec_lo
	global_store_dwordx2 v[4:5], v[12:13], off
	s_waitcnt_vscnt null, 0x0
	global_atomic_cmpswap_x2 v[2:3], v6, v[10:13], s[6:7] offset:32 glc
	s_waitcnt vmcnt(0)
	v_cmpx_ne_u64_e64 v[2:3], v[12:13]
	s_cbranch_execz .LBB6_365
; %bb.363:
	s_mov_b32 s11, 0
.LBB6_364:                              ; =>This Inner Loop Header: Depth=1
	v_mov_b32_e32 v0, s8
	v_mov_b32_e32 v1, s9
	s_sleep 1
	global_store_dwordx2 v[4:5], v[2:3], off
	s_waitcnt_vscnt null, 0x0
	global_atomic_cmpswap_x2 v[0:1], v6, v[0:3], s[6:7] offset:32 glc
	s_waitcnt vmcnt(0)
	v_cmp_eq_u64_e32 vcc_lo, v[0:1], v[2:3]
	v_mov_b32_e32 v3, v1
	v_mov_b32_e32 v2, v0
	s_or_b32 s11, vcc_lo, s11
	s_andn2_b32 exec_lo, exec_lo, s11
	s_cbranch_execnz .LBB6_364
.LBB6_365:
	s_or_b32 exec_lo, exec_lo, s10
	v_mov_b32_e32 v3, 0
	s_mov_b32 s11, exec_lo
	s_mov_b32 s10, exec_lo
	v_mbcnt_lo_u32_b32 v2, s11, 0
	global_load_dwordx2 v[0:1], v3, s[6:7] offset:16
	v_cmpx_eq_u32_e32 0, v2
	s_cbranch_execz .LBB6_367
; %bb.366:
	s_bcnt1_i32_b32 s11, s11
	v_mov_b32_e32 v2, s11
	s_waitcnt vmcnt(0)
	global_atomic_add_x2 v[0:1], v[2:3], off offset:8
.LBB6_367:
	s_or_b32 exec_lo, exec_lo, s10
	s_waitcnt vmcnt(0)
	global_load_dwordx2 v[2:3], v[0:1], off offset:16
	s_waitcnt vmcnt(0)
	v_cmp_eq_u64_e32 vcc_lo, 0, v[2:3]
	s_cbranch_vccnz .LBB6_369
; %bb.368:
	global_load_dword v0, v[0:1], off offset:24
	v_mov_b32_e32 v1, 0
	s_waitcnt vmcnt(0)
	v_readfirstlane_b32 s10, v0
	s_waitcnt_vscnt null, 0x0
	global_store_dwordx2 v[2:3], v[0:1], off
	s_and_b32 m0, s10, 0x7fffff
	s_sendmsg sendmsg(MSG_INTERRUPT)
.LBB6_369:
	s_or_b32 exec_lo, exec_lo, s5
	s_branch .LBB6_373
.LBB6_370:                              ;   in Loop: Header=BB6_373 Depth=1
	s_or_b32 exec_lo, exec_lo, s5
	v_readfirstlane_b32 s5, v0
	s_cmp_eq_u32 s5, 0
	s_cbranch_scc1 .LBB6_372
; %bb.371:                              ;   in Loop: Header=BB6_373 Depth=1
	s_sleep 1
	s_cbranch_execnz .LBB6_373
	s_branch .LBB6_375
.LBB6_372:
	s_branch .LBB6_375
.LBB6_373:                              ; =>This Inner Loop Header: Depth=1
	v_mov_b32_e32 v0, 1
	s_and_saveexec_b32 s5, s4
	s_cbranch_execz .LBB6_370
; %bb.374:                              ;   in Loop: Header=BB6_373 Depth=1
	global_load_dword v0, v[8:9], off offset:20 glc dlc
	s_waitcnt vmcnt(0)
	buffer_gl1_inv
	buffer_gl0_inv
	v_and_b32_e32 v0, 1, v0
	s_branch .LBB6_370
.LBB6_375:
	s_and_saveexec_b32 s10, s4
	s_cbranch_execz .LBB6_379
; %bb.376:
	v_mov_b32_e32 v6, 0
	s_clause 0x2
	global_load_dwordx2 v[0:1], v6, s[6:7] offset:40
	global_load_dwordx2 v[9:10], v6, s[6:7] offset:24 glc dlc
	global_load_dwordx2 v[2:3], v6, s[6:7]
	s_waitcnt vmcnt(2)
	v_readfirstlane_b32 s12, v0
	v_readfirstlane_b32 s13, v1
	s_add_u32 s11, s12, 1
	s_addc_u32 s14, s13, 0
	s_add_u32 s4, s11, s8
	s_addc_u32 s5, s14, s9
	s_cmp_eq_u64 s[4:5], 0
	s_cselect_b32 s5, s14, s5
	s_cselect_b32 s4, s11, s4
	v_mov_b32_e32 v8, s5
	s_and_b64 s[8:9], s[4:5], s[12:13]
	v_mov_b32_e32 v7, s4
	s_mul_i32 s9, s9, 24
	s_mul_hi_u32 s11, s8, 24
	s_mul_i32 s8, s8, 24
	s_add_i32 s11, s11, s9
	s_waitcnt vmcnt(0)
	v_add_co_u32 v4, vcc_lo, v2, s8
	v_add_co_ci_u32_e64 v5, null, s11, v3, vcc_lo
	global_store_dwordx2 v[4:5], v[9:10], off
	s_waitcnt_vscnt null, 0x0
	global_atomic_cmpswap_x2 v[2:3], v6, v[7:10], s[6:7] offset:24 glc
	s_waitcnt vmcnt(0)
	v_cmp_ne_u64_e32 vcc_lo, v[2:3], v[9:10]
	s_and_b32 exec_lo, exec_lo, vcc_lo
	s_cbranch_execz .LBB6_379
; %bb.377:
	s_mov_b32 s8, 0
.LBB6_378:                              ; =>This Inner Loop Header: Depth=1
	v_mov_b32_e32 v0, s4
	v_mov_b32_e32 v1, s5
	s_sleep 1
	global_store_dwordx2 v[4:5], v[2:3], off
	s_waitcnt_vscnt null, 0x0
	global_atomic_cmpswap_x2 v[0:1], v6, v[0:3], s[6:7] offset:24 glc
	s_waitcnt vmcnt(0)
	v_cmp_eq_u64_e32 vcc_lo, v[0:1], v[2:3]
	v_mov_b32_e32 v3, v1
	v_mov_b32_e32 v2, v0
	s_or_b32 s8, vcc_lo, s8
	s_andn2_b32 exec_lo, exec_lo, s8
	s_cbranch_execnz .LBB6_378
.LBB6_379:
	s_or_b32 exec_lo, exec_lo, s10
.LBB6_380:
	s_getpc_b64 s[4:5]
	s_add_u32 s4, s4, .str.29@rel32@lo+4
	s_addc_u32 s5, s5, .str.29@rel32@hi+12
	s_getpc_b64 s[6:7]
	s_add_u32 s6, s6, .str.19@rel32@lo+4
	s_addc_u32 s7, s7, .str.19@rel32@hi+12
	s_getpc_b64 s[8:9]
	s_add_u32 s8, s8, __PRETTY_FUNCTION__._ZN7VecsMemIjLi8192EE5fetchEi@rel32@lo+4
	s_addc_u32 s9, s9, __PRETTY_FUNCTION__._ZN7VecsMemIjLi8192EE5fetchEi@rel32@hi+12
	s_waitcnt vmcnt(0)
	v_mov_b32_e32 v0, s4
	v_mov_b32_e32 v1, s5
	;; [unrolled: 1-line block ×7, first 2 shown]
	s_getpc_b64 s[10:11]
	s_add_u32 s10, s10, __assert_fail@rel32@lo+4
	s_addc_u32 s11, s11, __assert_fail@rel32@hi+12
	s_mov_b64 s[8:9], s[52:53]
	s_swappc_b64 s[30:31], s[10:11]
	s_or_b32 s4, s22, exec_lo
.LBB6_381:
	s_or_b32 exec_lo, exec_lo, s40
	s_andn2_b32 s5, s22, exec_lo
	s_and_b32 s4, s4, exec_lo
	s_or_b32 s40, s5, s4
	s_orn2_b32 s4, s29, exec_lo
.LBB6_382:
	s_or_b32 exec_lo, exec_lo, s28
	s_mov_b32 s5, 0
	s_and_saveexec_b32 s28, s4
	s_cbranch_execz .LBB6_394
; %bb.383:
	v_mov_b32_e32 v0, 0
	s_mov_b32 s5, exec_lo
	buffer_store_dword v69, off, s[0:3], s33 offset:148
	buffer_store_dword v68, off, s[0:3], s33 offset:144
	v_cmpx_lt_i32_e32 0, v56
	s_cbranch_execz .LBB6_391
; %bb.384:
	v_mov_b32_e32 v2, v54
	v_mov_b32_e32 v1, 0
	;; [unrolled: 1-line block ×4, first 2 shown]
	s_mov_b32 s6, 0
	s_mov_b32 s7, 0
	s_inst_prefetch 0x1
	s_branch .LBB6_386
.LBB6_385:                              ;   in Loop: Header=BB6_386 Depth=1
	s_or_b32 exec_lo, exec_lo, s4
	flat_load_dword v56, v[52:53] offset:4
	s_add_i32 s7, s7, 1
	v_add_co_u32 v2, s4, v2, 4
	v_add_co_ci_u32_e64 v3, null, 0, v3, s4
	s_waitcnt vmcnt(0) lgkmcnt(0)
	v_cmp_ge_i32_e32 vcc_lo, s7, v56
	s_or_b32 s6, vcc_lo, s6
	s_andn2_b32 exec_lo, exec_lo, s6
	s_cbranch_execz .LBB6_390
.LBB6_386:                              ; =>This Inner Loop Header: Depth=1
	flat_load_dword v4, v[2:3]
	s_mov_b32 s4, exec_lo
	s_waitcnt vmcnt(0) lgkmcnt(0)
	v_cmpx_gt_i32_e32 0, v4
	s_xor_b32 s4, exec_lo, s4
	s_cbranch_execz .LBB6_388
; %bb.387:                              ;   in Loop: Header=BB6_386 Depth=1
	v_and_b32_e32 v4, 0x7fffffff, v4
	flat_store_dword v[2:3], v4
                                        ; implicit-def: $vgpr4
.LBB6_388:                              ;   in Loop: Header=BB6_386 Depth=1
	s_andn2_saveexec_b32 s4, s4
	s_cbranch_execz .LBB6_385
; %bb.389:                              ;   in Loop: Header=BB6_386 Depth=1
	v_ashrrev_i32_e32 v1, 31, v0
	v_lshlrev_b64 v[5:6], 2, v[0:1]
	v_add_nc_u32_e32 v1, 1, v0
	v_mov_b32_e32 v0, v1
	v_add_co_u32 v5, vcc_lo, v68, v5
	v_add_co_ci_u32_e64 v6, null, v69, v6, vcc_lo
	flat_store_dword v[5:6], v4
	s_branch .LBB6_385
.LBB6_390:
	s_inst_prefetch 0x2
	s_or_b32 exec_lo, exec_lo, s6
	buffer_store_dword v1, off, s[0:3], s33 offset:140
.LBB6_391:
	s_or_b32 exec_lo, exec_lo, s5
	s_mov_b32 s4, -1
	s_mov_b32 s5, s40
	s_mov_b32 s6, exec_lo
	v_cmpx_ne_u32_e64 v67, v0
	s_xor_b32 s29, exec_lo, s6
	s_cbranch_execz .LBB6_393
; %bb.392:
	s_getpc_b64 s[4:5]
	s_add_u32 s4, s4, .str.40@rel32@lo+4
	s_addc_u32 s5, s5, .str.40@rel32@hi+12
	s_getpc_b64 s[6:7]
	s_add_u32 s6, s6, .str.31@rel32@lo+4
	s_addc_u32 s7, s7, .str.31@rel32@hi+12
	s_getpc_b64 s[8:9]
	s_add_u32 s8, s8, __PRETTY_FUNCTION__._ZN3sop17sopDivideInternalEPNS_3SopES1_S1_S1_P7VecsMemIjLi8192EE@rel32@lo+4
	s_addc_u32 s9, s9, __PRETTY_FUNCTION__._ZN3sop17sopDivideInternalEPNS_3SopES1_S1_S1_P7VecsMemIjLi8192EE@rel32@hi+12
	v_mov_b32_e32 v0, s4
	v_mov_b32_e32 v1, s5
	;; [unrolled: 1-line block ×7, first 2 shown]
	s_getpc_b64 s[10:11]
	s_add_u32 s10, s10, __assert_fail@rel32@lo+4
	s_addc_u32 s11, s11, __assert_fail@rel32@hi+12
	s_mov_b64 s[8:9], s[52:53]
	s_swappc_b64 s[30:31], s[10:11]
	s_or_b32 s5, s40, exec_lo
	s_xor_b32 s4, exec_lo, -1
.LBB6_393:
	s_or_b32 exec_lo, exec_lo, s29
	s_andn2_b32 s6, s40, exec_lo
	s_and_b32 s5, s5, exec_lo
	s_or_b32 s40, s6, s5
	s_and_b32 s5, s4, exec_lo
.LBB6_394:
	s_or_b32 exec_lo, exec_lo, s28
	s_andn2_b32 s4, s22, exec_lo
	s_and_b32 s6, s40, exec_lo
	s_and_b32 s28, s5, exec_lo
	s_or_b32 s29, s4, s6
.LBB6_395:
	s_andn2_saveexec_b32 s27, s27
	s_cbranch_execz .LBB6_397
; %bb.396:
	s_getpc_b64 s[4:5]
	s_add_u32 s4, s4, .str.39@rel32@lo+4
	s_addc_u32 s5, s5, .str.39@rel32@hi+12
	s_getpc_b64 s[6:7]
	s_add_u32 s6, s6, .str.31@rel32@lo+4
	s_addc_u32 s7, s7, .str.31@rel32@hi+12
	s_getpc_b64 s[8:9]
	s_add_u32 s8, s8, __PRETTY_FUNCTION__._ZN3sop17sopDivideInternalEPNS_3SopES1_S1_S1_P7VecsMemIjLi8192EE@rel32@lo+4
	s_addc_u32 s9, s9, __PRETTY_FUNCTION__._ZN3sop17sopDivideInternalEPNS_3SopES1_S1_S1_P7VecsMemIjLi8192EE@rel32@hi+12
	v_mov_b32_e32 v0, s4
	v_mov_b32_e32 v1, s5
	;; [unrolled: 1-line block ×7, first 2 shown]
	s_getpc_b64 s[10:11]
	s_add_u32 s10, s10, __assert_fail@rel32@lo+4
	s_addc_u32 s11, s11, __assert_fail@rel32@hi+12
	s_mov_b64 s[8:9], s[52:53]
	buffer_store_dword v71, off, s[0:3], s33 offset:124
	s_swappc_b64 s[30:31], s[10:11]
	s_or_b32 s29, s29, exec_lo
.LBB6_397:
	s_or_b32 exec_lo, exec_lo, s27
	s_andn2_b32 s4, s22, exec_lo
	s_and_b32 s5, s29, exec_lo
	s_or_b32 s22, s4, s5
	s_and_b32 s4, s28, exec_lo
.LBB6_398:
	s_or_b32 exec_lo, exec_lo, s23
	s_andn2_b32 s5, s64, exec_lo
	s_and_b32 s6, s22, exec_lo
                                        ; implicit-def: $vgpr68_vgpr69
	s_or_b32 s22, s5, s6
	s_and_b32 s5, s4, exec_lo
	s_or_saveexec_b32 s6, s21
	s_mov_b32 s29, 0
	s_xor_b32 exec_lo, exec_lo, s6
	s_cbranch_execz .LBB6_50
.LBB6_399:
	flat_load_dword v0, v[44:45]
	v_mov_b32_e32 v57, 0
	s_mov_b32 s4, 0
	s_mov_b32 s8, -1
	s_mov_b32 s9, s5
	s_mov_b32 s7, exec_lo
	buffer_store_dword v57, off, s[0:3], s33 offset:124
                                        ; implicit-def: $vgpr66
                                        ; implicit-def: $vgpr64_vgpr65
                                        ; implicit-def: $vgpr54_vgpr55
	s_waitcnt vmcnt(0) lgkmcnt(0)
	v_add_nc_u32_e32 v0, v0, v56
	v_cmpx_gt_i32_e32 0x2001, v0
	s_cbranch_execz .LBB6_409
; %bb.400:
	flat_load_dword v10, v[68:69]
	v_ashrrev_i32_e32 v1, 31, v0
	v_lshlrev_b64 v[5:6], 2, v[56:57]
	s_mov_b32 s4, -1
	s_mov_b32 s9, s5
	s_mov_b32 s8, exec_lo
	v_lshlrev_b64 v[3:4], 2, v[0:1]
	flat_store_dword v[44:45], v0
                                        ; implicit-def: $vgpr66
                                        ; implicit-def: $vgpr54_vgpr55
	v_add_co_u32 v3, vcc_lo, v44, v3
	v_add_co_ci_u32_e64 v4, null, v45, v4, vcc_lo
	v_sub_co_u32 v2, vcc_lo, v3, v5
	v_sub_co_ci_u32_e64 v5, null, v4, v6, vcc_lo
	v_add_co_u32 v64, vcc_lo, v2, 4
	v_add_co_ci_u32_e64 v65, null, 0, v5, vcc_lo
	v_add_nc_u32_e32 v2, v0, v56
	buffer_store_dword v65, off, s[0:3], s33 offset:132
	buffer_store_dword v64, off, s[0:3], s33 offset:128
	buffer_store_dword v57, off, s[0:3], s33 offset:140
	v_cmpx_gt_i32_e32 0x2001, v2
	s_cbranch_execz .LBB6_408
; %bb.401:
	flat_load_dwordx2 v[54:55], v[52:53] offset:8
	v_ashrrev_i32_e32 v57, 31, v56
	v_sub_co_u32 v5, s4, 0, v56
	v_sub_co_ci_u32_e64 v6, null, 0, 0, s4
	v_lshlrev_b64 v[7:8], 2, v[56:57]
	s_waitcnt vmcnt(1) lgkmcnt(2)
	v_not_b32_e32 v11, v10
	v_mov_b32_e32 v12, 0
	v_lshlrev_b64 v[5:6], 2, v[5:6]
	v_mov_b32_e32 v15, 0
	v_mov_b32_e32 v16, 0
	v_add_co_u32 v3, vcc_lo, v3, v7
	v_add_co_ci_u32_e64 v4, null, v4, v8, vcc_lo
	s_mov_b32 s9, 0
	v_add_co_u32 v7, vcc_lo, v3, v5
	v_add_co_ci_u32_e64 v4, null, v4, v6, vcc_lo
	v_ashrrev_i32_e32 v3, 31, v2
	v_add_co_u32 v7, vcc_lo, v7, 4
	v_add_co_ci_u32_e64 v8, null, 0, v4, vcc_lo
	v_add_co_u32 v13, vcc_lo, v44, v5
	v_add_co_ci_u32_e64 v14, null, v45, v6, vcc_lo
	v_mov_b32_e32 v6, 0
	s_mov_b32 s10, 0
	flat_store_dword v[44:45], v2
	buffer_store_dword v8, off, s[0:3], s33 offset:148
	buffer_store_dword v7, off, s[0:3], s33 offset:144
	s_waitcnt vmcnt(0) lgkmcnt(1)
	v_mov_b32_e32 v4, v54
	v_mov_b32_e32 v5, v55
	s_branch .LBB6_403
.LBB6_402:                              ;   in Loop: Header=BB6_403 Depth=1
	s_or_b32 exec_lo, exec_lo, s4
	v_ashrrev_i32_e32 v7, 31, v6
	v_lshlrev_b64 v[8:9], 2, v[8:9]
	s_add_i32 s10, s10, 1
	v_add_co_u32 v4, s4, v4, 4
	v_lshlrev_b64 v[6:7], 2, v[6:7]
	v_add_co_ci_u32_e64 v5, null, 0, v5, s4
	v_add_co_u32 v8, vcc_lo, v13, v8
	v_add_co_ci_u32_e64 v9, null, v14, v9, vcc_lo
	v_add_co_u32 v6, vcc_lo, v8, v6
	v_add_co_ci_u32_e64 v7, null, v9, v7, vcc_lo
	flat_store_dword v[6:7], v17 offset:4
	flat_load_dword v56, v[52:53] offset:4
	v_mov_b32_e32 v6, v18
	s_waitcnt vmcnt(0) lgkmcnt(0)
	v_cmp_ge_i32_e32 vcc_lo, s10, v56
	s_or_b32 s9, vcc_lo, s9
	s_andn2_b32 exec_lo, exec_lo, s9
	s_cbranch_execz .LBB6_407
.LBB6_403:                              ; =>This Inner Loop Header: Depth=1
	flat_load_dword v17, v[4:5]
	s_mov_b32 s4, exec_lo
	s_waitcnt vmcnt(0) lgkmcnt(0)
	v_and_b32_e32 v7, v17, v10
	v_cmpx_ne_u32_e64 v7, v10
	s_xor_b32 s4, exec_lo, s4
; %bb.404:                              ;   in Loop: Header=BB6_403 Depth=1
	v_add_nc_u32_e32 v15, 1, v6
; %bb.405:                              ;   in Loop: Header=BB6_403 Depth=1
	s_or_saveexec_b32 s4, s4
	v_mov_b32_e32 v9, v3
	v_mov_b32_e32 v66, v16
	;; [unrolled: 1-line block ×4, first 2 shown]
	s_xor_b32 exec_lo, exec_lo, s4
	s_cbranch_execz .LBB6_402
; %bb.406:                              ;   in Loop: Header=BB6_403 Depth=1
	v_add_nc_u32_e32 v12, 1, v16
	v_mov_b32_e32 v9, v1
	v_and_b32_e32 v17, v17, v11
	v_mov_b32_e32 v18, v6
	v_mov_b32_e32 v6, v16
	;; [unrolled: 1-line block ×5, first 2 shown]
	s_branch .LBB6_402
.LBB6_407:
	s_or_b32 exec_lo, exec_lo, s9
	s_xor_b32 s4, exec_lo, -1
	s_or_b32 s9, s5, exec_lo
	buffer_store_dword v15, off, s[0:3], s33 offset:140
	buffer_store_dword v12, off, s[0:3], s33 offset:124
.LBB6_408:
	s_or_b32 exec_lo, exec_lo, s8
	s_andn2_b32 s10, s5, exec_lo
	s_and_b32 s9, s9, exec_lo
	s_xor_b32 s8, exec_lo, -1
	s_and_b32 s4, s4, exec_lo
	s_or_b32 s9, s10, s9
.LBB6_409:
	s_or_b32 exec_lo, exec_lo, s7
	s_andn2_b32 s5, s5, exec_lo
	s_and_b32 s7, s9, exec_lo
	s_and_b32 s29, s8, exec_lo
	;; [unrolled: 1-line block ×3, first 2 shown]
	s_or_b32 s5, s5, s7
	s_or_b32 exec_lo, exec_lo, s6
                                        ; implicit-def: $vgpr41
	s_and_saveexec_b32 s40, s5
	s_cbranch_execz .LBB6_2494
.LBB6_410:
	s_mov_b32 s23, s22
	s_mov_b32 s4, exec_lo
	v_cmpx_gt_i32_e32 1, v66
	s_xor_b32 s21, exec_lo, s4
	s_cbranch_execz .LBB6_412
; %bb.411:
	s_getpc_b64 s[4:5]
	s_add_u32 s4, s4, .str.34@rel32@lo+4
	s_addc_u32 s5, s5, .str.34@rel32@hi+12
	s_getpc_b64 s[6:7]
	s_add_u32 s6, s6, .str.31@rel32@lo+4
	s_addc_u32 s7, s7, .str.31@rel32@hi+12
	s_getpc_b64 s[8:9]
	s_add_u32 s8, s8, __PRETTY_FUNCTION__._ZN3sop12sopFactorRecEPNS_3SopEiP7VecsMemIjLi8192EEPN8subgUtil4SubgILi256EEE@rel32@lo+4
	s_addc_u32 s9, s9, __PRETTY_FUNCTION__._ZN3sop12sopFactorRecEPNS_3SopEiP7VecsMemIjLi8192EEPN8subgUtil4SubgILi256EEE@rel32@hi+12
	v_mov_b32_e32 v0, s4
	v_mov_b32_e32 v1, s5
	;; [unrolled: 1-line block ×7, first 2 shown]
	s_getpc_b64 s[10:11]
	s_add_u32 s10, s10, __assert_fail@rel32@lo+4
	s_addc_u32 s11, s11, __assert_fail@rel32@hi+12
	s_mov_b64 s[8:9], s[52:53]
	s_swappc_b64 s[30:31], s[10:11]
	s_or_b32 s23, s22, exec_lo
                                        ; implicit-def: $vgpr66
                                        ; implicit-def: $vgpr64_vgpr65
                                        ; implicit-def: $vgpr56
                                        ; implicit-def: $vgpr54_vgpr55
                                        ; implicit-def: $vgpr44_vgpr45
                                        ; implicit-def: $vgpr42_vgpr43
                                        ; implicit-def: $vgpr47
                                        ; implicit-def: $vgpr52_vgpr53
.LBB6_412:
	s_or_saveexec_b32 s41, s21
                                        ; implicit-def: $vgpr41
	s_xor_b32 exec_lo, exec_lo, s41
	s_cbranch_execz .LBB6_2493
; %bb.413:
	s_mov_b32 s43, 0
	s_mov_b32 s28, 0
	;; [unrolled: 1-line block ×3, first 2 shown]
                                        ; implicit-def: $vgpr41
	s_mov_b32 s4, exec_lo
	v_cmpx_ne_u32_e32 1, v66
	s_xor_b32 s44, exec_lo, s4
                                        ; implicit-def: $vgpr59 : SGPR spill to VGPR lane
	s_cbranch_execz .LBB6_1823
; %bb.414:
	v_mov_b32_e32 v0, v64
	v_mov_b32_e32 v2, -1
	v_mov_b32_e32 v1, v65
	v_mov_b32_e32 v3, v66
	s_mov_b32 s5, 0
.LBB6_415:                              ; =>This Inner Loop Header: Depth=1
	flat_load_dword v4, v[0:1]
	v_add_nc_u32_e32 v3, -1, v3
	v_add_co_u32 v0, vcc_lo, v0, 4
	v_add_co_ci_u32_e64 v1, null, 0, v1, vcc_lo
	v_cmp_eq_u32_e64 s4, 0, v3
	s_or_b32 s5, s4, s5
	s_waitcnt vmcnt(0) lgkmcnt(0)
	v_and_b32_e32 v2, v4, v2
	s_andn2_b32 exec_lo, exec_lo, s5
	s_cbranch_execnz .LBB6_415
; %bb.416:
	s_or_b32 exec_lo, exec_lo, s5
	s_mov_b32 s6, 0
	s_mov_b32 s5, exec_lo
	v_cmpx_ne_u32_e32 0, v2
	s_cbranch_execz .LBB6_420
; %bb.417:
	v_mov_b32_e32 v0, v64
	v_not_b32_e32 v2, v2
	v_mov_b32_e32 v1, v65
	v_mov_b32_e32 v3, v66
.LBB6_418:                              ; =>This Inner Loop Header: Depth=1
	flat_load_dword v4, v[0:1]
	v_add_nc_u32_e32 v3, -1, v3
	v_cmp_eq_u32_e32 vcc_lo, 0, v3
	s_or_b32 s6, vcc_lo, s6
	s_waitcnt vmcnt(0) lgkmcnt(0)
	v_and_b32_e32 v4, v4, v2
	flat_store_dword v[0:1], v4
	v_add_co_u32 v0, s4, v0, 4
	v_add_co_ci_u32_e64 v1, null, 0, v1, s4
	s_andn2_b32 exec_lo, exec_lo, s6
	s_cbranch_execnz .LBB6_418
; %bb.419:
	s_or_b32 exec_lo, exec_lo, s6
	flat_load_dword v56, v[52:53] offset:4
.LBB6_420:
	s_or_b32 exec_lo, exec_lo, s5
	s_mov_b32 s21, 0
	s_mov_b32 s27, s23
                                        ; implicit-def: $vgpr41
	s_mov_b32 s4, exec_lo
	s_waitcnt vmcnt(0) lgkmcnt(0)
	v_cmpx_ge_i32_e64 v56, v66
	s_xor_b32 s45, exec_lo, s4
	s_cbranch_execz .LBB6_1820
; %bb.421:
	v_mov_b32_e32 v67, 0
	v_mov_b32_e32 v0, 0
	;; [unrolled: 1-line block ×3, first 2 shown]
	s_mov_b32 s4, -1
	s_mov_b32 s21, s23
	s_mov_b32 s27, exec_lo
	buffer_store_dword v0, off, s[0:3], s33 offset:108
	v_cmpx_le_u32_e64 v66, v56
	s_cbranch_execz .LBB6_568
; %bb.422:
	flat_load_dword v3, v[44:45]
	v_cvt_f32_u32_e32 v0, v66
	v_sub_nc_u32_e32 v1, 0, v66
	v_mov_b32_e32 v67, 0
	v_mov_b32_e32 v68, 0
	s_mov_b32 s28, 0
	v_rcp_iflag_f32_e32 v0, v0
	s_mov_b32 s4, exec_lo
	v_mul_f32_e32 v0, 0x4f7ffffe, v0
	v_cvt_u32_f32_e32 v0, v0
	v_mul_lo_u32 v1, v1, v0
	v_mul_hi_u32 v1, v0, v1
	v_add_nc_u32_e32 v0, v0, v1
	v_mad_u64_u32 v[0:1], null, v56, v0, 0
	v_mul_lo_u32 v0, v1, v66
	v_add_nc_u32_e32 v2, 1, v1
	v_sub_nc_u32_e32 v0, v56, v0
	v_sub_nc_u32_e32 v4, v0, v66
	v_cmp_ge_u32_e32 vcc_lo, v0, v66
	v_cndmask_b32_e32 v1, v1, v2, vcc_lo
	v_cndmask_b32_e32 v0, v0, v4, vcc_lo
	v_add_nc_u32_e32 v2, 1, v1
	v_cmp_ge_u32_e32 vcc_lo, v0, v66
	v_cndmask_b32_e32 v2, v1, v2, vcc_lo
	s_waitcnt vmcnt(0) lgkmcnt(0)
	v_add_nc_u32_e32 v0, v3, v2
	v_cmpx_gt_i32_e32 0x2001, v0
	s_xor_b32 s4, exec_lo, s4
	s_cbranch_execz .LBB6_424
; %bb.423:
	v_ashrrev_i32_e32 v1, 31, v0
	v_mov_b32_e32 v3, 0
	s_mov_b32 s28, exec_lo
	flat_store_dword v[44:45], v0
	v_lshlrev_b64 v[4:5], 2, v[0:1]
	v_lshlrev_b64 v[1:2], 2, v[2:3]
	v_add_co_u32 v3, vcc_lo, v44, v4
	v_add_co_ci_u32_e64 v4, null, v45, v5, vcc_lo
	v_sub_co_u32 v1, vcc_lo, v3, v1
	v_sub_co_ci_u32_e64 v2, null, v4, v2, vcc_lo
	v_add_co_u32 v67, vcc_lo, v1, 4
	v_add_co_ci_u32_e64 v68, null, 0, v2, vcc_lo
.LBB6_424:
	s_or_saveexec_b32 s21, s4
	s_mov_b32 s4, s23
	s_xor_b32 exec_lo, exec_lo, s21
	s_cbranch_execz .LBB6_567
; %bb.425:
	s_load_dwordx2 s[6:7], s[52:53], 0x50
	v_mbcnt_lo_u32_b32 v29, -1, 0
	v_mov_b32_e32 v6, 0
	v_mov_b32_e32 v7, 0
	v_readfirstlane_b32 s4, v29
	v_cmp_eq_u32_e64 s4, s4, v29
	s_and_saveexec_b32 s5, s4
	s_cbranch_execz .LBB6_431
; %bb.426:
	v_mov_b32_e32 v0, 0
	s_mov_b32 s8, exec_lo
	s_waitcnt lgkmcnt(0)
	global_load_dwordx2 v[3:4], v0, s[6:7] offset:24 glc dlc
	s_waitcnt vmcnt(0)
	buffer_gl1_inv
	buffer_gl0_inv
	s_clause 0x1
	global_load_dwordx2 v[1:2], v0, s[6:7] offset:40
	global_load_dwordx2 v[5:6], v0, s[6:7]
	s_waitcnt vmcnt(1)
	v_and_b32_e32 v2, v2, v4
	v_and_b32_e32 v1, v1, v3
	v_mul_lo_u32 v2, v2, 24
	v_mul_hi_u32 v7, v1, 24
	v_mul_lo_u32 v1, v1, 24
	v_add_nc_u32_e32 v2, v7, v2
	s_waitcnt vmcnt(0)
	v_add_co_u32 v1, vcc_lo, v5, v1
	v_add_co_ci_u32_e64 v2, null, v6, v2, vcc_lo
	global_load_dwordx2 v[1:2], v[1:2], off glc dlc
	s_waitcnt vmcnt(0)
	global_atomic_cmpswap_x2 v[6:7], v0, v[1:4], s[6:7] offset:24 glc
	s_waitcnt vmcnt(0)
	buffer_gl1_inv
	buffer_gl0_inv
	v_cmpx_ne_u64_e64 v[6:7], v[3:4]
	s_cbranch_execz .LBB6_430
; %bb.427:
	s_mov_b32 s9, 0
.LBB6_428:                              ; =>This Inner Loop Header: Depth=1
	s_sleep 1
	s_clause 0x1
	global_load_dwordx2 v[1:2], v0, s[6:7] offset:40
	global_load_dwordx2 v[8:9], v0, s[6:7]
	v_mov_b32_e32 v3, v6
	v_mov_b32_e32 v4, v7
	s_waitcnt vmcnt(1)
	v_and_b32_e32 v1, v1, v3
	v_and_b32_e32 v2, v2, v4
	s_waitcnt vmcnt(0)
	v_mad_u64_u32 v[5:6], null, v1, 24, v[8:9]
	v_mov_b32_e32 v1, v6
	v_mad_u64_u32 v[1:2], null, v2, 24, v[1:2]
	v_mov_b32_e32 v6, v1
	global_load_dwordx2 v[1:2], v[5:6], off glc dlc
	s_waitcnt vmcnt(0)
	global_atomic_cmpswap_x2 v[6:7], v0, v[1:4], s[6:7] offset:24 glc
	s_waitcnt vmcnt(0)
	buffer_gl1_inv
	buffer_gl0_inv
	v_cmp_eq_u64_e32 vcc_lo, v[6:7], v[3:4]
	s_or_b32 s9, vcc_lo, s9
	s_andn2_b32 exec_lo, exec_lo, s9
	s_cbranch_execnz .LBB6_428
; %bb.429:
	s_or_b32 exec_lo, exec_lo, s9
.LBB6_430:
	s_or_b32 exec_lo, exec_lo, s8
.LBB6_431:
	s_or_b32 exec_lo, exec_lo, s5
	v_mov_b32_e32 v5, 0
	v_readfirstlane_b32 s9, v7
	v_readfirstlane_b32 s8, v6
	s_mov_b32 s5, exec_lo
	s_waitcnt lgkmcnt(0)
	s_clause 0x1
	global_load_dwordx2 v[8:9], v5, s[6:7] offset:40
	global_load_dwordx4 v[0:3], v5, s[6:7]
	s_waitcnt vmcnt(1)
	v_readfirstlane_b32 s10, v8
	v_readfirstlane_b32 s11, v9
	s_and_b64 s[10:11], s[10:11], s[8:9]
	s_mul_i32 s12, s11, 24
	s_mul_hi_u32 s13, s10, 24
	s_mul_i32 s14, s10, 24
	s_add_i32 s13, s13, s12
	s_waitcnt vmcnt(0)
	v_add_co_u32 v8, vcc_lo, v0, s14
	v_add_co_ci_u32_e64 v9, null, s13, v1, vcc_lo
	s_and_saveexec_b32 s12, s4
	s_cbranch_execz .LBB6_433
; %bb.432:
	v_mov_b32_e32 v4, s5
	v_mov_b32_e32 v6, 2
	v_mov_b32_e32 v7, 1
	global_store_dwordx4 v[8:9], v[4:7], off offset:8
.LBB6_433:
	s_or_b32 exec_lo, exec_lo, s12
	s_lshl_b64 s[10:11], s[10:11], 12
	v_lshlrev_b32_e32 v28, 6, v29
	v_add_co_u32 v2, vcc_lo, v2, s10
	v_add_co_ci_u32_e64 v3, null, s11, v3, vcc_lo
	s_mov_b32 s12, 0
	v_add_co_u32 v10, vcc_lo, v2, v28
	s_mov_b32 s13, s12
	s_mov_b32 s14, s12
	;; [unrolled: 1-line block ×3, first 2 shown]
	v_mov_b32_e32 v4, 33
	v_mov_b32_e32 v6, v5
	;; [unrolled: 1-line block ×3, first 2 shown]
	v_readfirstlane_b32 s10, v2
	v_readfirstlane_b32 s11, v3
	v_mov_b32_e32 v12, s12
	v_add_co_ci_u32_e64 v11, null, 0, v3, vcc_lo
	v_mov_b32_e32 v13, s13
	v_mov_b32_e32 v14, s14
	;; [unrolled: 1-line block ×3, first 2 shown]
	global_store_dwordx4 v28, v[4:7], s[10:11]
	global_store_dwordx4 v28, v[12:15], s[10:11] offset:16
	global_store_dwordx4 v28, v[12:15], s[10:11] offset:32
	global_store_dwordx4 v28, v[12:15], s[10:11] offset:48
	s_and_saveexec_b32 s5, s4
	s_cbranch_execz .LBB6_441
; %bb.434:
	v_mov_b32_e32 v6, 0
	v_mov_b32_e32 v12, s8
	;; [unrolled: 1-line block ×3, first 2 shown]
	s_mov_b32 s10, exec_lo
	s_clause 0x1
	global_load_dwordx2 v[14:15], v6, s[6:7] offset:32 glc dlc
	global_load_dwordx2 v[2:3], v6, s[6:7] offset:40
	s_waitcnt vmcnt(0)
	v_and_b32_e32 v3, s9, v3
	v_and_b32_e32 v2, s8, v2
	v_mul_lo_u32 v3, v3, 24
	v_mul_hi_u32 v4, v2, 24
	v_mul_lo_u32 v2, v2, 24
	v_add_nc_u32_e32 v3, v4, v3
	v_add_co_u32 v4, vcc_lo, v0, v2
	v_add_co_ci_u32_e64 v5, null, v1, v3, vcc_lo
	global_store_dwordx2 v[4:5], v[14:15], off
	s_waitcnt_vscnt null, 0x0
	global_atomic_cmpswap_x2 v[2:3], v6, v[12:15], s[6:7] offset:32 glc
	s_waitcnt vmcnt(0)
	v_cmpx_ne_u64_e64 v[2:3], v[14:15]
	s_cbranch_execz .LBB6_437
; %bb.435:
	s_mov_b32 s11, 0
.LBB6_436:                              ; =>This Inner Loop Header: Depth=1
	v_mov_b32_e32 v0, s8
	v_mov_b32_e32 v1, s9
	s_sleep 1
	global_store_dwordx2 v[4:5], v[2:3], off
	s_waitcnt_vscnt null, 0x0
	global_atomic_cmpswap_x2 v[0:1], v6, v[0:3], s[6:7] offset:32 glc
	s_waitcnt vmcnt(0)
	v_cmp_eq_u64_e32 vcc_lo, v[0:1], v[2:3]
	v_mov_b32_e32 v3, v1
	v_mov_b32_e32 v2, v0
	s_or_b32 s11, vcc_lo, s11
	s_andn2_b32 exec_lo, exec_lo, s11
	s_cbranch_execnz .LBB6_436
.LBB6_437:
	s_or_b32 exec_lo, exec_lo, s10
	v_mov_b32_e32 v3, 0
	s_mov_b32 s11, exec_lo
	s_mov_b32 s10, exec_lo
	v_mbcnt_lo_u32_b32 v2, s11, 0
	global_load_dwordx2 v[0:1], v3, s[6:7] offset:16
	v_cmpx_eq_u32_e32 0, v2
	s_cbranch_execz .LBB6_439
; %bb.438:
	s_bcnt1_i32_b32 s11, s11
	v_mov_b32_e32 v2, s11
	s_waitcnt vmcnt(0)
	global_atomic_add_x2 v[0:1], v[2:3], off offset:8
.LBB6_439:
	s_or_b32 exec_lo, exec_lo, s10
	s_waitcnt vmcnt(0)
	global_load_dwordx2 v[2:3], v[0:1], off offset:16
	s_waitcnt vmcnt(0)
	v_cmp_eq_u64_e32 vcc_lo, 0, v[2:3]
	s_cbranch_vccnz .LBB6_441
; %bb.440:
	global_load_dword v0, v[0:1], off offset:24
	v_mov_b32_e32 v1, 0
	s_waitcnt vmcnt(0)
	v_readfirstlane_b32 s10, v0
	s_waitcnt_vscnt null, 0x0
	global_store_dwordx2 v[2:3], v[0:1], off
	s_and_b32 m0, s10, 0x7fffff
	s_sendmsg sendmsg(MSG_INTERRUPT)
.LBB6_441:
	s_or_b32 exec_lo, exec_lo, s5
	s_branch .LBB6_445
.LBB6_442:                              ;   in Loop: Header=BB6_445 Depth=1
	s_or_b32 exec_lo, exec_lo, s5
	v_readfirstlane_b32 s5, v0
	s_cmp_eq_u32 s5, 0
	s_cbranch_scc1 .LBB6_444
; %bb.443:                              ;   in Loop: Header=BB6_445 Depth=1
	s_sleep 1
	s_cbranch_execnz .LBB6_445
	s_branch .LBB6_447
.LBB6_444:
	s_branch .LBB6_447
.LBB6_445:                              ; =>This Inner Loop Header: Depth=1
	v_mov_b32_e32 v0, 1
	s_and_saveexec_b32 s5, s4
	s_cbranch_execz .LBB6_442
; %bb.446:                              ;   in Loop: Header=BB6_445 Depth=1
	global_load_dword v0, v[8:9], off offset:20 glc dlc
	s_waitcnt vmcnt(0)
	buffer_gl1_inv
	buffer_gl0_inv
	v_and_b32_e32 v0, 1, v0
	s_branch .LBB6_442
.LBB6_447:
	global_load_dwordx2 v[0:1], v[10:11], off
	s_and_saveexec_b32 s10, s4
	s_cbranch_execz .LBB6_451
; %bb.448:
	v_mov_b32_e32 v8, 0
	s_clause 0x2
	global_load_dwordx2 v[2:3], v8, s[6:7] offset:40
	global_load_dwordx2 v[11:12], v8, s[6:7] offset:24 glc dlc
	global_load_dwordx2 v[4:5], v8, s[6:7]
	s_waitcnt vmcnt(2)
	v_readfirstlane_b32 s12, v2
	v_readfirstlane_b32 s13, v3
	s_add_u32 s11, s12, 1
	s_addc_u32 s14, s13, 0
	s_add_u32 s4, s11, s8
	s_addc_u32 s5, s14, s9
	s_cmp_eq_u64 s[4:5], 0
	s_cselect_b32 s5, s14, s5
	s_cselect_b32 s4, s11, s4
	v_mov_b32_e32 v10, s5
	s_and_b64 s[8:9], s[4:5], s[12:13]
	v_mov_b32_e32 v9, s4
	s_mul_i32 s9, s9, 24
	s_mul_hi_u32 s11, s8, 24
	s_mul_i32 s8, s8, 24
	s_add_i32 s11, s11, s9
	s_waitcnt vmcnt(0)
	v_add_co_u32 v6, vcc_lo, v4, s8
	v_add_co_ci_u32_e64 v7, null, s11, v5, vcc_lo
	global_store_dwordx2 v[6:7], v[11:12], off
	s_waitcnt_vscnt null, 0x0
	global_atomic_cmpswap_x2 v[4:5], v8, v[9:12], s[6:7] offset:24 glc
	s_waitcnt vmcnt(0)
	v_cmp_ne_u64_e32 vcc_lo, v[4:5], v[11:12]
	s_and_b32 exec_lo, exec_lo, vcc_lo
	s_cbranch_execz .LBB6_451
; %bb.449:
	s_mov_b32 s8, 0
.LBB6_450:                              ; =>This Inner Loop Header: Depth=1
	v_mov_b32_e32 v2, s4
	v_mov_b32_e32 v3, s5
	s_sleep 1
	global_store_dwordx2 v[6:7], v[4:5], off
	s_waitcnt_vscnt null, 0x0
	global_atomic_cmpswap_x2 v[2:3], v8, v[2:5], s[6:7] offset:24 glc
	s_waitcnt vmcnt(0)
	v_cmp_eq_u64_e32 vcc_lo, v[2:3], v[4:5]
	v_mov_b32_e32 v5, v3
	v_mov_b32_e32 v4, v2
	s_or_b32 s8, vcc_lo, s8
	s_andn2_b32 exec_lo, exec_lo, s8
	s_cbranch_execnz .LBB6_450
.LBB6_451:
	s_or_b32 exec_lo, exec_lo, s10
	s_getpc_b64 s[8:9]
	s_add_u32 s8, s8, .str.28@rel32@lo+4
	s_addc_u32 s9, s9, .str.28@rel32@hi+12
	s_cmp_lg_u64 s[8:9], 0
	s_cbranch_scc0 .LBB6_537
; %bb.452:
	s_waitcnt vmcnt(0)
	v_and_b32_e32 v6, -3, v0
	v_mov_b32_e32 v7, v1
	v_mov_b32_e32 v3, 0
	;; [unrolled: 1-line block ×4, first 2 shown]
	s_mov_b64 s[10:11], 35
	s_branch .LBB6_454
.LBB6_453:                              ;   in Loop: Header=BB6_454 Depth=1
	s_or_b32 exec_lo, exec_lo, s16
	s_sub_u32 s10, s10, s12
	s_subb_u32 s11, s11, s13
	s_add_u32 s8, s8, s12
	s_addc_u32 s9, s9, s13
	s_cmp_lg_u64 s[10:11], 0
	s_cbranch_scc0 .LBB6_536
.LBB6_454:                              ; =>This Loop Header: Depth=1
                                        ;     Child Loop BB6_457 Depth 2
                                        ;     Child Loop BB6_465 Depth 2
	;; [unrolled: 1-line block ×11, first 2 shown]
	v_cmp_lt_u64_e64 s4, s[10:11], 56
	v_cmp_gt_u64_e64 s14, s[10:11], 7
	s_and_b32 s4, s4, exec_lo
	s_cselect_b32 s13, s11, 0
	s_cselect_b32 s12, s10, 56
	s_add_u32 s4, s8, 8
	s_addc_u32 s5, s9, 0
	s_and_b32 vcc_lo, exec_lo, s14
	s_cbranch_vccnz .LBB6_459
; %bb.455:                              ;   in Loop: Header=BB6_454 Depth=1
	s_waitcnt vmcnt(0)
	v_mov_b32_e32 v8, 0
	v_mov_b32_e32 v9, 0
	s_cmp_eq_u64 s[10:11], 0
	s_cbranch_scc1 .LBB6_458
; %bb.456:                              ;   in Loop: Header=BB6_454 Depth=1
	s_lshl_b64 s[4:5], s[12:13], 3
	s_mov_b64 s[14:15], 0
	s_mov_b64 s[16:17], s[8:9]
.LBB6_457:                              ;   Parent Loop BB6_454 Depth=1
                                        ; =>  This Inner Loop Header: Depth=2
	global_load_ubyte v2, v3, s[16:17]
	s_waitcnt vmcnt(0)
	v_and_b32_e32 v2, 0xffff, v2
	v_lshlrev_b64 v[10:11], s14, v[2:3]
	s_add_u32 s14, s14, 8
	s_addc_u32 s15, s15, 0
	s_add_u32 s16, s16, 1
	s_addc_u32 s17, s17, 0
	s_cmp_lg_u32 s4, s14
	v_or_b32_e32 v8, v10, v8
	v_or_b32_e32 v9, v11, v9
	s_cbranch_scc1 .LBB6_457
.LBB6_458:                              ;   in Loop: Header=BB6_454 Depth=1
	s_mov_b32 s14, 0
	s_mov_b64 s[4:5], s[8:9]
	s_branch .LBB6_460
.LBB6_459:                              ;   in Loop: Header=BB6_454 Depth=1
	s_mov_b32 s14, -1
.LBB6_460:                              ;   in Loop: Header=BB6_454 Depth=1
	s_andn2_b32 vcc_lo, exec_lo, s14
	s_mov_b32 s18, 0
	s_cbranch_vccnz .LBB6_462
; %bb.461:                              ;   in Loop: Header=BB6_454 Depth=1
	global_load_dwordx2 v[8:9], v3, s[8:9]
	s_add_i32 s18, s12, -8
.LBB6_462:                              ;   in Loop: Header=BB6_454 Depth=1
	s_add_u32 s14, s4, 8
	s_addc_u32 s15, s5, 0
	s_cmp_gt_u32 s18, 7
	s_cbranch_scc1 .LBB6_467
; %bb.463:                              ;   in Loop: Header=BB6_454 Depth=1
	v_mov_b32_e32 v10, 0
	v_mov_b32_e32 v11, 0
	s_cmp_eq_u32 s18, 0
	s_cbranch_scc1 .LBB6_466
; %bb.464:                              ;   in Loop: Header=BB6_454 Depth=1
	s_mov_b64 s[14:15], 0
	s_mov_b64 s[16:17], 0
.LBB6_465:                              ;   Parent Loop BB6_454 Depth=1
                                        ; =>  This Inner Loop Header: Depth=2
	s_add_u32 s46, s4, s16
	s_addc_u32 s47, s5, s17
	s_add_u32 s16, s16, 1
	global_load_ubyte v2, v3, s[46:47]
	s_addc_u32 s17, s17, 0
	s_waitcnt vmcnt(0)
	v_and_b32_e32 v2, 0xffff, v2
	v_lshlrev_b64 v[12:13], s14, v[2:3]
	s_add_u32 s14, s14, 8
	s_addc_u32 s15, s15, 0
	s_cmp_lg_u32 s18, s16
	v_or_b32_e32 v10, v12, v10
	v_or_b32_e32 v11, v13, v11
	s_cbranch_scc1 .LBB6_465
.LBB6_466:                              ;   in Loop: Header=BB6_454 Depth=1
	s_mov_b32 s16, 0
	s_mov_b64 s[14:15], s[4:5]
	s_branch .LBB6_468
.LBB6_467:                              ;   in Loop: Header=BB6_454 Depth=1
	s_mov_b32 s16, -1
                                        ; implicit-def: $vgpr10_vgpr11
.LBB6_468:                              ;   in Loop: Header=BB6_454 Depth=1
	s_andn2_b32 vcc_lo, exec_lo, s16
	s_mov_b32 s19, 0
	s_cbranch_vccnz .LBB6_470
; %bb.469:                              ;   in Loop: Header=BB6_454 Depth=1
	global_load_dwordx2 v[10:11], v3, s[4:5]
	s_add_i32 s19, s18, -8
.LBB6_470:                              ;   in Loop: Header=BB6_454 Depth=1
	s_add_u32 s4, s14, 8
	s_addc_u32 s5, s15, 0
	s_cmp_gt_u32 s19, 7
	s_cbranch_scc1 .LBB6_475
; %bb.471:                              ;   in Loop: Header=BB6_454 Depth=1
	v_mov_b32_e32 v12, 0
	v_mov_b32_e32 v13, 0
	s_cmp_eq_u32 s19, 0
	s_cbranch_scc1 .LBB6_474
; %bb.472:                              ;   in Loop: Header=BB6_454 Depth=1
	s_mov_b64 s[4:5], 0
	s_mov_b64 s[16:17], 0
.LBB6_473:                              ;   Parent Loop BB6_454 Depth=1
                                        ; =>  This Inner Loop Header: Depth=2
	s_add_u32 s46, s14, s16
	s_addc_u32 s47, s15, s17
	s_add_u32 s16, s16, 1
	global_load_ubyte v2, v3, s[46:47]
	s_addc_u32 s17, s17, 0
	s_waitcnt vmcnt(0)
	v_and_b32_e32 v2, 0xffff, v2
	v_lshlrev_b64 v[14:15], s4, v[2:3]
	s_add_u32 s4, s4, 8
	s_addc_u32 s5, s5, 0
	s_cmp_lg_u32 s19, s16
	v_or_b32_e32 v12, v14, v12
	v_or_b32_e32 v13, v15, v13
	s_cbranch_scc1 .LBB6_473
.LBB6_474:                              ;   in Loop: Header=BB6_454 Depth=1
	s_mov_b32 s16, 0
	s_mov_b64 s[4:5], s[14:15]
	s_branch .LBB6_476
.LBB6_475:                              ;   in Loop: Header=BB6_454 Depth=1
	s_mov_b32 s16, -1
.LBB6_476:                              ;   in Loop: Header=BB6_454 Depth=1
	s_andn2_b32 vcc_lo, exec_lo, s16
	s_mov_b32 s18, 0
	s_cbranch_vccnz .LBB6_478
; %bb.477:                              ;   in Loop: Header=BB6_454 Depth=1
	global_load_dwordx2 v[12:13], v3, s[14:15]
	s_add_i32 s18, s19, -8
.LBB6_478:                              ;   in Loop: Header=BB6_454 Depth=1
	s_add_u32 s14, s4, 8
	s_addc_u32 s15, s5, 0
	s_cmp_gt_u32 s18, 7
	s_cbranch_scc1 .LBB6_483
; %bb.479:                              ;   in Loop: Header=BB6_454 Depth=1
	v_mov_b32_e32 v14, 0
	v_mov_b32_e32 v15, 0
	s_cmp_eq_u32 s18, 0
	s_cbranch_scc1 .LBB6_482
; %bb.480:                              ;   in Loop: Header=BB6_454 Depth=1
	s_mov_b64 s[14:15], 0
	s_mov_b64 s[16:17], 0
.LBB6_481:                              ;   Parent Loop BB6_454 Depth=1
                                        ; =>  This Inner Loop Header: Depth=2
	s_add_u32 s46, s4, s16
	s_addc_u32 s47, s5, s17
	s_add_u32 s16, s16, 1
	global_load_ubyte v2, v3, s[46:47]
	s_addc_u32 s17, s17, 0
	s_waitcnt vmcnt(0)
	v_and_b32_e32 v2, 0xffff, v2
	v_lshlrev_b64 v[16:17], s14, v[2:3]
	s_add_u32 s14, s14, 8
	s_addc_u32 s15, s15, 0
	s_cmp_lg_u32 s18, s16
	v_or_b32_e32 v14, v16, v14
	v_or_b32_e32 v15, v17, v15
	s_cbranch_scc1 .LBB6_481
.LBB6_482:                              ;   in Loop: Header=BB6_454 Depth=1
	s_mov_b32 s16, 0
	s_mov_b64 s[14:15], s[4:5]
	s_branch .LBB6_484
.LBB6_483:                              ;   in Loop: Header=BB6_454 Depth=1
	s_mov_b32 s16, -1
                                        ; implicit-def: $vgpr14_vgpr15
.LBB6_484:                              ;   in Loop: Header=BB6_454 Depth=1
	s_andn2_b32 vcc_lo, exec_lo, s16
	s_mov_b32 s19, 0
	s_cbranch_vccnz .LBB6_486
; %bb.485:                              ;   in Loop: Header=BB6_454 Depth=1
	global_load_dwordx2 v[14:15], v3, s[4:5]
	s_add_i32 s19, s18, -8
.LBB6_486:                              ;   in Loop: Header=BB6_454 Depth=1
	s_add_u32 s4, s14, 8
	s_addc_u32 s5, s15, 0
	s_cmp_gt_u32 s19, 7
	s_cbranch_scc1 .LBB6_491
; %bb.487:                              ;   in Loop: Header=BB6_454 Depth=1
	v_mov_b32_e32 v16, 0
	v_mov_b32_e32 v17, 0
	s_cmp_eq_u32 s19, 0
	s_cbranch_scc1 .LBB6_490
; %bb.488:                              ;   in Loop: Header=BB6_454 Depth=1
	s_mov_b64 s[4:5], 0
	s_mov_b64 s[16:17], 0
.LBB6_489:                              ;   Parent Loop BB6_454 Depth=1
                                        ; =>  This Inner Loop Header: Depth=2
	s_add_u32 s46, s14, s16
	s_addc_u32 s47, s15, s17
	s_add_u32 s16, s16, 1
	global_load_ubyte v2, v3, s[46:47]
	s_addc_u32 s17, s17, 0
	s_waitcnt vmcnt(0)
	v_and_b32_e32 v2, 0xffff, v2
	v_lshlrev_b64 v[18:19], s4, v[2:3]
	s_add_u32 s4, s4, 8
	s_addc_u32 s5, s5, 0
	s_cmp_lg_u32 s19, s16
	v_or_b32_e32 v16, v18, v16
	v_or_b32_e32 v17, v19, v17
	s_cbranch_scc1 .LBB6_489
.LBB6_490:                              ;   in Loop: Header=BB6_454 Depth=1
	s_mov_b32 s16, 0
	s_mov_b64 s[4:5], s[14:15]
	s_branch .LBB6_492
.LBB6_491:                              ;   in Loop: Header=BB6_454 Depth=1
	s_mov_b32 s16, -1
.LBB6_492:                              ;   in Loop: Header=BB6_454 Depth=1
	s_andn2_b32 vcc_lo, exec_lo, s16
	s_mov_b32 s18, 0
	s_cbranch_vccnz .LBB6_494
; %bb.493:                              ;   in Loop: Header=BB6_454 Depth=1
	global_load_dwordx2 v[16:17], v3, s[14:15]
	s_add_i32 s18, s19, -8
.LBB6_494:                              ;   in Loop: Header=BB6_454 Depth=1
	s_add_u32 s14, s4, 8
	s_addc_u32 s15, s5, 0
	s_cmp_gt_u32 s18, 7
	s_cbranch_scc1 .LBB6_499
; %bb.495:                              ;   in Loop: Header=BB6_454 Depth=1
	v_mov_b32_e32 v18, 0
	v_mov_b32_e32 v19, 0
	s_cmp_eq_u32 s18, 0
	s_cbranch_scc1 .LBB6_498
; %bb.496:                              ;   in Loop: Header=BB6_454 Depth=1
	s_mov_b64 s[14:15], 0
	s_mov_b64 s[16:17], 0
.LBB6_497:                              ;   Parent Loop BB6_454 Depth=1
                                        ; =>  This Inner Loop Header: Depth=2
	s_add_u32 s46, s4, s16
	s_addc_u32 s47, s5, s17
	s_add_u32 s16, s16, 1
	global_load_ubyte v2, v3, s[46:47]
	s_addc_u32 s17, s17, 0
	s_waitcnt vmcnt(0)
	v_and_b32_e32 v2, 0xffff, v2
	v_lshlrev_b64 v[20:21], s14, v[2:3]
	s_add_u32 s14, s14, 8
	s_addc_u32 s15, s15, 0
	s_cmp_lg_u32 s18, s16
	v_or_b32_e32 v18, v20, v18
	v_or_b32_e32 v19, v21, v19
	s_cbranch_scc1 .LBB6_497
.LBB6_498:                              ;   in Loop: Header=BB6_454 Depth=1
	s_mov_b32 s16, 0
	s_mov_b64 s[14:15], s[4:5]
	s_branch .LBB6_500
.LBB6_499:                              ;   in Loop: Header=BB6_454 Depth=1
	s_mov_b32 s16, -1
                                        ; implicit-def: $vgpr18_vgpr19
.LBB6_500:                              ;   in Loop: Header=BB6_454 Depth=1
	s_andn2_b32 vcc_lo, exec_lo, s16
	s_mov_b32 s19, 0
	s_cbranch_vccnz .LBB6_502
; %bb.501:                              ;   in Loop: Header=BB6_454 Depth=1
	global_load_dwordx2 v[18:19], v3, s[4:5]
	s_add_i32 s19, s18, -8
.LBB6_502:                              ;   in Loop: Header=BB6_454 Depth=1
	s_cmp_gt_u32 s19, 7
	s_cbranch_scc1 .LBB6_507
; %bb.503:                              ;   in Loop: Header=BB6_454 Depth=1
	v_mov_b32_e32 v20, 0
	v_mov_b32_e32 v21, 0
	s_cmp_eq_u32 s19, 0
	s_cbranch_scc1 .LBB6_506
; %bb.504:                              ;   in Loop: Header=BB6_454 Depth=1
	s_mov_b64 s[4:5], 0
	s_mov_b64 s[16:17], s[14:15]
.LBB6_505:                              ;   Parent Loop BB6_454 Depth=1
                                        ; =>  This Inner Loop Header: Depth=2
	global_load_ubyte v2, v3, s[16:17]
	s_add_i32 s19, s19, -1
	s_waitcnt vmcnt(0)
	v_and_b32_e32 v2, 0xffff, v2
	v_lshlrev_b64 v[22:23], s4, v[2:3]
	s_add_u32 s4, s4, 8
	s_addc_u32 s5, s5, 0
	s_add_u32 s16, s16, 1
	s_addc_u32 s17, s17, 0
	s_cmp_lg_u32 s19, 0
	v_or_b32_e32 v20, v22, v20
	v_or_b32_e32 v21, v23, v21
	s_cbranch_scc1 .LBB6_505
.LBB6_506:                              ;   in Loop: Header=BB6_454 Depth=1
	s_mov_b32 s4, 0
	s_branch .LBB6_508
.LBB6_507:                              ;   in Loop: Header=BB6_454 Depth=1
	s_mov_b32 s4, -1
.LBB6_508:                              ;   in Loop: Header=BB6_454 Depth=1
	s_andn2_b32 vcc_lo, exec_lo, s4
	s_cbranch_vccnz .LBB6_510
; %bb.509:                              ;   in Loop: Header=BB6_454 Depth=1
	global_load_dwordx2 v[20:21], v3, s[14:15]
.LBB6_510:                              ;   in Loop: Header=BB6_454 Depth=1
	v_readfirstlane_b32 s4, v29
	v_mov_b32_e32 v26, 0
	v_mov_b32_e32 v27, 0
	v_cmp_eq_u32_e64 s4, s4, v29
	s_and_saveexec_b32 s5, s4
	s_cbranch_execz .LBB6_516
; %bb.511:                              ;   in Loop: Header=BB6_454 Depth=1
	global_load_dwordx2 v[24:25], v3, s[6:7] offset:24 glc dlc
	s_waitcnt vmcnt(0)
	buffer_gl1_inv
	buffer_gl0_inv
	s_clause 0x1
	global_load_dwordx2 v[22:23], v3, s[6:7] offset:40
	global_load_dwordx2 v[26:27], v3, s[6:7]
	s_mov_b32 s14, exec_lo
	s_waitcnt vmcnt(1)
	v_and_b32_e32 v2, v23, v25
	v_and_b32_e32 v22, v22, v24
	v_mul_lo_u32 v2, v2, 24
	v_mul_hi_u32 v23, v22, 24
	v_mul_lo_u32 v22, v22, 24
	v_add_nc_u32_e32 v2, v23, v2
	s_waitcnt vmcnt(0)
	v_add_co_u32 v22, vcc_lo, v26, v22
	v_add_co_ci_u32_e64 v23, null, v27, v2, vcc_lo
	global_load_dwordx2 v[22:23], v[22:23], off glc dlc
	s_waitcnt vmcnt(0)
	global_atomic_cmpswap_x2 v[26:27], v3, v[22:25], s[6:7] offset:24 glc
	s_waitcnt vmcnt(0)
	buffer_gl1_inv
	buffer_gl0_inv
	v_cmpx_ne_u64_e64 v[26:27], v[24:25]
	s_cbranch_execz .LBB6_515
; %bb.512:                              ;   in Loop: Header=BB6_454 Depth=1
	s_mov_b32 s15, 0
.LBB6_513:                              ;   Parent Loop BB6_454 Depth=1
                                        ; =>  This Inner Loop Header: Depth=2
	s_sleep 1
	s_clause 0x1
	global_load_dwordx2 v[22:23], v3, s[6:7] offset:40
	global_load_dwordx2 v[30:31], v3, s[6:7]
	v_mov_b32_e32 v24, v26
	v_mov_b32_e32 v25, v27
	s_waitcnt vmcnt(1)
	v_and_b32_e32 v2, v22, v24
	v_and_b32_e32 v22, v23, v25
	s_waitcnt vmcnt(0)
	v_mad_u64_u32 v[26:27], null, v2, 24, v[30:31]
	v_mov_b32_e32 v2, v27
	v_mad_u64_u32 v[22:23], null, v22, 24, v[2:3]
	v_mov_b32_e32 v27, v22
	global_load_dwordx2 v[22:23], v[26:27], off glc dlc
	s_waitcnt vmcnt(0)
	global_atomic_cmpswap_x2 v[26:27], v3, v[22:25], s[6:7] offset:24 glc
	s_waitcnt vmcnt(0)
	buffer_gl1_inv
	buffer_gl0_inv
	v_cmp_eq_u64_e32 vcc_lo, v[26:27], v[24:25]
	s_or_b32 s15, vcc_lo, s15
	s_andn2_b32 exec_lo, exec_lo, s15
	s_cbranch_execnz .LBB6_513
; %bb.514:                              ;   in Loop: Header=BB6_454 Depth=1
	s_or_b32 exec_lo, exec_lo, s15
.LBB6_515:                              ;   in Loop: Header=BB6_454 Depth=1
	s_or_b32 exec_lo, exec_lo, s14
.LBB6_516:                              ;   in Loop: Header=BB6_454 Depth=1
	s_or_b32 exec_lo, exec_lo, s5
	s_clause 0x1
	global_load_dwordx2 v[30:31], v3, s[6:7] offset:40
	global_load_dwordx4 v[22:25], v3, s[6:7]
	v_readfirstlane_b32 s15, v27
	v_readfirstlane_b32 s14, v26
	s_mov_b32 s5, exec_lo
	s_waitcnt vmcnt(1)
	v_readfirstlane_b32 s16, v30
	v_readfirstlane_b32 s17, v31
	s_and_b64 s[16:17], s[16:17], s[14:15]
	s_mul_i32 s18, s17, 24
	s_mul_hi_u32 s19, s16, 24
	s_mul_i32 s20, s16, 24
	s_add_i32 s19, s19, s18
	s_waitcnt vmcnt(0)
	v_add_co_u32 v26, vcc_lo, v22, s20
	v_add_co_ci_u32_e64 v27, null, s19, v23, vcc_lo
	s_and_saveexec_b32 s18, s4
	s_cbranch_execz .LBB6_518
; %bb.517:                              ;   in Loop: Header=BB6_454 Depth=1
	v_mov_b32_e32 v2, s5
	global_store_dwordx4 v[26:27], v[2:5], off offset:8
.LBB6_518:                              ;   in Loop: Header=BB6_454 Depth=1
	s_or_b32 exec_lo, exec_lo, s18
	v_cmp_gt_u64_e64 s5, s[10:11], 56
	s_lshl_b64 s[16:17], s[16:17], 12
	v_and_b32_e32 v2, 0xffffff1f, v6
	v_add_co_u32 v24, vcc_lo, v24, s16
	v_add_co_ci_u32_e64 v25, null, s17, v25, vcc_lo
	s_and_b32 s5, s5, exec_lo
	s_cselect_b32 s5, 0, 2
	s_lshl_b32 s18, s12, 2
	v_or_b32_e32 v2, s5, v2
	v_readfirstlane_b32 s16, v24
	v_readfirstlane_b32 s17, v25
	s_add_i32 s18, s18, 28
	v_and_or_b32 v6, 0x1e0, s18, v2
	global_store_dwordx4 v28, v[10:13], s[16:17] offset:16
	global_store_dwordx4 v28, v[14:17], s[16:17] offset:32
	global_store_dwordx4 v28, v[6:9], s[16:17]
	global_store_dwordx4 v28, v[18:21], s[16:17] offset:48
	s_and_saveexec_b32 s5, s4
	s_cbranch_execz .LBB6_526
; %bb.519:                              ;   in Loop: Header=BB6_454 Depth=1
	s_clause 0x1
	global_load_dwordx2 v[14:15], v3, s[6:7] offset:32 glc dlc
	global_load_dwordx2 v[6:7], v3, s[6:7] offset:40
	v_mov_b32_e32 v12, s14
	v_mov_b32_e32 v13, s15
	s_waitcnt vmcnt(0)
	v_readfirstlane_b32 s16, v6
	v_readfirstlane_b32 s17, v7
	s_and_b64 s[16:17], s[16:17], s[14:15]
	s_mul_i32 s17, s17, 24
	s_mul_hi_u32 s18, s16, 24
	s_mul_i32 s16, s16, 24
	s_add_i32 s18, s18, s17
	v_add_co_u32 v10, vcc_lo, v22, s16
	v_add_co_ci_u32_e64 v11, null, s18, v23, vcc_lo
	s_mov_b32 s16, exec_lo
	global_store_dwordx2 v[10:11], v[14:15], off
	s_waitcnt_vscnt null, 0x0
	global_atomic_cmpswap_x2 v[8:9], v3, v[12:15], s[6:7] offset:32 glc
	s_waitcnt vmcnt(0)
	v_cmpx_ne_u64_e64 v[8:9], v[14:15]
	s_cbranch_execz .LBB6_522
; %bb.520:                              ;   in Loop: Header=BB6_454 Depth=1
	s_mov_b32 s17, 0
.LBB6_521:                              ;   Parent Loop BB6_454 Depth=1
                                        ; =>  This Inner Loop Header: Depth=2
	v_mov_b32_e32 v6, s14
	v_mov_b32_e32 v7, s15
	s_sleep 1
	global_store_dwordx2 v[10:11], v[8:9], off
	s_waitcnt_vscnt null, 0x0
	global_atomic_cmpswap_x2 v[6:7], v3, v[6:9], s[6:7] offset:32 glc
	s_waitcnt vmcnt(0)
	v_cmp_eq_u64_e32 vcc_lo, v[6:7], v[8:9]
	v_mov_b32_e32 v9, v7
	v_mov_b32_e32 v8, v6
	s_or_b32 s17, vcc_lo, s17
	s_andn2_b32 exec_lo, exec_lo, s17
	s_cbranch_execnz .LBB6_521
.LBB6_522:                              ;   in Loop: Header=BB6_454 Depth=1
	s_or_b32 exec_lo, exec_lo, s16
	global_load_dwordx2 v[6:7], v3, s[6:7] offset:16
	s_mov_b32 s17, exec_lo
	s_mov_b32 s16, exec_lo
	v_mbcnt_lo_u32_b32 v2, s17, 0
	v_cmpx_eq_u32_e32 0, v2
	s_cbranch_execz .LBB6_524
; %bb.523:                              ;   in Loop: Header=BB6_454 Depth=1
	s_bcnt1_i32_b32 s17, s17
	v_mov_b32_e32 v2, s17
	s_waitcnt vmcnt(0)
	global_atomic_add_x2 v[6:7], v[2:3], off offset:8
.LBB6_524:                              ;   in Loop: Header=BB6_454 Depth=1
	s_or_b32 exec_lo, exec_lo, s16
	s_waitcnt vmcnt(0)
	global_load_dwordx2 v[8:9], v[6:7], off offset:16
	s_waitcnt vmcnt(0)
	v_cmp_eq_u64_e32 vcc_lo, 0, v[8:9]
	s_cbranch_vccnz .LBB6_526
; %bb.525:                              ;   in Loop: Header=BB6_454 Depth=1
	global_load_dword v2, v[6:7], off offset:24
	s_waitcnt vmcnt(0)
	v_readfirstlane_b32 s16, v2
	s_waitcnt_vscnt null, 0x0
	global_store_dwordx2 v[8:9], v[2:3], off
	s_and_b32 m0, s16, 0x7fffff
	s_sendmsg sendmsg(MSG_INTERRUPT)
.LBB6_526:                              ;   in Loop: Header=BB6_454 Depth=1
	s_or_b32 exec_lo, exec_lo, s5
	v_add_co_u32 v6, vcc_lo, v24, v28
	v_add_co_ci_u32_e64 v7, null, 0, v25, vcc_lo
	s_branch .LBB6_530
	.p2align	6
.LBB6_527:                              ;   in Loop: Header=BB6_530 Depth=2
	s_or_b32 exec_lo, exec_lo, s5
	v_readfirstlane_b32 s5, v2
	s_cmp_eq_u32 s5, 0
	s_cbranch_scc1 .LBB6_529
; %bb.528:                              ;   in Loop: Header=BB6_530 Depth=2
	s_sleep 1
	s_cbranch_execnz .LBB6_530
	s_branch .LBB6_532
	.p2align	6
.LBB6_529:                              ;   in Loop: Header=BB6_454 Depth=1
	s_branch .LBB6_532
.LBB6_530:                              ;   Parent Loop BB6_454 Depth=1
                                        ; =>  This Inner Loop Header: Depth=2
	v_mov_b32_e32 v2, 1
	s_and_saveexec_b32 s5, s4
	s_cbranch_execz .LBB6_527
; %bb.531:                              ;   in Loop: Header=BB6_530 Depth=2
	global_load_dword v2, v[26:27], off offset:20 glc dlc
	s_waitcnt vmcnt(0)
	buffer_gl1_inv
	buffer_gl0_inv
	v_and_b32_e32 v2, 1, v2
	s_branch .LBB6_527
.LBB6_532:                              ;   in Loop: Header=BB6_454 Depth=1
	global_load_dwordx4 v[6:9], v[6:7], off
	s_and_saveexec_b32 s16, s4
	s_cbranch_execz .LBB6_453
; %bb.533:                              ;   in Loop: Header=BB6_454 Depth=1
	s_clause 0x2
	global_load_dwordx2 v[8:9], v3, s[6:7] offset:40
	global_load_dwordx2 v[16:17], v3, s[6:7] offset:24 glc dlc
	global_load_dwordx2 v[10:11], v3, s[6:7]
	s_waitcnt vmcnt(2)
	v_readfirstlane_b32 s18, v8
	v_readfirstlane_b32 s19, v9
	s_add_u32 s17, s18, 1
	s_addc_u32 s20, s19, 0
	s_add_u32 s4, s17, s14
	s_addc_u32 s5, s20, s15
	s_cmp_eq_u64 s[4:5], 0
	s_cselect_b32 s5, s20, s5
	s_cselect_b32 s4, s17, s4
	v_mov_b32_e32 v15, s5
	s_and_b64 s[14:15], s[4:5], s[18:19]
	v_mov_b32_e32 v14, s4
	s_mul_i32 s15, s15, 24
	s_mul_hi_u32 s17, s14, 24
	s_mul_i32 s14, s14, 24
	s_add_i32 s17, s17, s15
	s_waitcnt vmcnt(0)
	v_add_co_u32 v12, vcc_lo, v10, s14
	v_add_co_ci_u32_e64 v13, null, s17, v11, vcc_lo
	global_store_dwordx2 v[12:13], v[16:17], off
	s_waitcnt_vscnt null, 0x0
	global_atomic_cmpswap_x2 v[10:11], v3, v[14:17], s[6:7] offset:24 glc
	s_waitcnt vmcnt(0)
	v_cmp_ne_u64_e32 vcc_lo, v[10:11], v[16:17]
	s_and_b32 exec_lo, exec_lo, vcc_lo
	s_cbranch_execz .LBB6_453
; %bb.534:                              ;   in Loop: Header=BB6_454 Depth=1
	s_mov_b32 s14, 0
.LBB6_535:                              ;   Parent Loop BB6_454 Depth=1
                                        ; =>  This Inner Loop Header: Depth=2
	v_mov_b32_e32 v8, s4
	v_mov_b32_e32 v9, s5
	s_sleep 1
	global_store_dwordx2 v[12:13], v[10:11], off
	s_waitcnt_vscnt null, 0x0
	global_atomic_cmpswap_x2 v[8:9], v3, v[8:11], s[6:7] offset:24 glc
	s_waitcnt vmcnt(0)
	v_cmp_eq_u64_e32 vcc_lo, v[8:9], v[10:11]
	v_mov_b32_e32 v11, v9
	v_mov_b32_e32 v10, v8
	s_or_b32 s14, vcc_lo, s14
	s_andn2_b32 exec_lo, exec_lo, s14
	s_cbranch_execnz .LBB6_535
	s_branch .LBB6_453
.LBB6_536:
	s_mov_b32 s4, 0
	s_branch .LBB6_538
.LBB6_537:
	s_mov_b32 s4, -1
.LBB6_538:
	s_and_b32 vcc_lo, exec_lo, s4
	s_cbranch_vccz .LBB6_566
; %bb.539:
	v_readfirstlane_b32 s4, v29
	s_waitcnt vmcnt(0)
	v_mov_b32_e32 v8, 0
	v_mov_b32_e32 v9, 0
	v_cmp_eq_u32_e64 s4, s4, v29
	s_and_saveexec_b32 s5, s4
	s_cbranch_execz .LBB6_545
; %bb.540:
	v_mov_b32_e32 v2, 0
	s_mov_b32 s8, exec_lo
	global_load_dwordx2 v[5:6], v2, s[6:7] offset:24 glc dlc
	s_waitcnt vmcnt(0)
	buffer_gl1_inv
	buffer_gl0_inv
	s_clause 0x1
	global_load_dwordx2 v[3:4], v2, s[6:7] offset:40
	global_load_dwordx2 v[7:8], v2, s[6:7]
	s_waitcnt vmcnt(1)
	v_and_b32_e32 v4, v4, v6
	v_and_b32_e32 v3, v3, v5
	v_mul_lo_u32 v4, v4, 24
	v_mul_hi_u32 v9, v3, 24
	v_mul_lo_u32 v3, v3, 24
	v_add_nc_u32_e32 v4, v9, v4
	s_waitcnt vmcnt(0)
	v_add_co_u32 v3, vcc_lo, v7, v3
	v_add_co_ci_u32_e64 v4, null, v8, v4, vcc_lo
	global_load_dwordx2 v[3:4], v[3:4], off glc dlc
	s_waitcnt vmcnt(0)
	global_atomic_cmpswap_x2 v[8:9], v2, v[3:6], s[6:7] offset:24 glc
	s_waitcnt vmcnt(0)
	buffer_gl1_inv
	buffer_gl0_inv
	v_cmpx_ne_u64_e64 v[8:9], v[5:6]
	s_cbranch_execz .LBB6_544
; %bb.541:
	s_mov_b32 s9, 0
.LBB6_542:                              ; =>This Inner Loop Header: Depth=1
	s_sleep 1
	s_clause 0x1
	global_load_dwordx2 v[3:4], v2, s[6:7] offset:40
	global_load_dwordx2 v[10:11], v2, s[6:7]
	v_mov_b32_e32 v5, v8
	v_mov_b32_e32 v6, v9
	s_waitcnt vmcnt(1)
	v_and_b32_e32 v3, v3, v5
	v_and_b32_e32 v4, v4, v6
	s_waitcnt vmcnt(0)
	v_mad_u64_u32 v[7:8], null, v3, 24, v[10:11]
	v_mov_b32_e32 v3, v8
	v_mad_u64_u32 v[3:4], null, v4, 24, v[3:4]
	v_mov_b32_e32 v8, v3
	global_load_dwordx2 v[3:4], v[7:8], off glc dlc
	s_waitcnt vmcnt(0)
	global_atomic_cmpswap_x2 v[8:9], v2, v[3:6], s[6:7] offset:24 glc
	s_waitcnt vmcnt(0)
	buffer_gl1_inv
	buffer_gl0_inv
	v_cmp_eq_u64_e32 vcc_lo, v[8:9], v[5:6]
	s_or_b32 s9, vcc_lo, s9
	s_andn2_b32 exec_lo, exec_lo, s9
	s_cbranch_execnz .LBB6_542
; %bb.543:
	s_or_b32 exec_lo, exec_lo, s9
.LBB6_544:
	s_or_b32 exec_lo, exec_lo, s8
.LBB6_545:
	s_or_b32 exec_lo, exec_lo, s5
	v_mov_b32_e32 v2, 0
	v_readfirstlane_b32 s9, v9
	v_readfirstlane_b32 s8, v8
	s_mov_b32 s5, exec_lo
	s_clause 0x1
	global_load_dwordx2 v[10:11], v2, s[6:7] offset:40
	global_load_dwordx4 v[4:7], v2, s[6:7]
	s_waitcnt vmcnt(1)
	v_readfirstlane_b32 s10, v10
	v_readfirstlane_b32 s11, v11
	s_and_b64 s[10:11], s[10:11], s[8:9]
	s_mul_i32 s12, s11, 24
	s_mul_hi_u32 s13, s10, 24
	s_mul_i32 s14, s10, 24
	s_add_i32 s13, s13, s12
	s_waitcnt vmcnt(0)
	v_add_co_u32 v8, vcc_lo, v4, s14
	v_add_co_ci_u32_e64 v9, null, s13, v5, vcc_lo
	s_and_saveexec_b32 s12, s4
	s_cbranch_execz .LBB6_547
; %bb.546:
	v_mov_b32_e32 v10, s5
	v_mov_b32_e32 v11, v2
	;; [unrolled: 1-line block ×4, first 2 shown]
	global_store_dwordx4 v[8:9], v[10:13], off offset:8
.LBB6_547:
	s_or_b32 exec_lo, exec_lo, s12
	s_lshl_b64 s[10:11], s[10:11], 12
	s_mov_b32 s12, 0
	v_add_co_u32 v6, vcc_lo, v6, s10
	v_add_co_ci_u32_e64 v7, null, s11, v7, vcc_lo
	s_mov_b32 s13, s12
	s_mov_b32 s14, s12
	;; [unrolled: 1-line block ×3, first 2 shown]
	v_and_or_b32 v0, 0xffffff1d, v0, 34
	v_mov_b32_e32 v3, v2
	v_readfirstlane_b32 s10, v6
	v_readfirstlane_b32 s11, v7
	v_mov_b32_e32 v10, s12
	v_mov_b32_e32 v11, s13
	;; [unrolled: 1-line block ×4, first 2 shown]
	global_store_dwordx4 v28, v[0:3], s[10:11]
	global_store_dwordx4 v28, v[10:13], s[10:11] offset:16
	global_store_dwordx4 v28, v[10:13], s[10:11] offset:32
	;; [unrolled: 1-line block ×3, first 2 shown]
	s_and_saveexec_b32 s5, s4
	s_cbranch_execz .LBB6_555
; %bb.548:
	v_mov_b32_e32 v6, 0
	v_mov_b32_e32 v10, s8
	;; [unrolled: 1-line block ×3, first 2 shown]
	s_clause 0x1
	global_load_dwordx2 v[12:13], v6, s[6:7] offset:32 glc dlc
	global_load_dwordx2 v[0:1], v6, s[6:7] offset:40
	s_waitcnt vmcnt(0)
	v_readfirstlane_b32 s10, v0
	v_readfirstlane_b32 s11, v1
	s_and_b64 s[10:11], s[10:11], s[8:9]
	s_mul_i32 s11, s11, 24
	s_mul_hi_u32 s12, s10, 24
	s_mul_i32 s10, s10, 24
	s_add_i32 s12, s12, s11
	v_add_co_u32 v4, vcc_lo, v4, s10
	v_add_co_ci_u32_e64 v5, null, s12, v5, vcc_lo
	s_mov_b32 s10, exec_lo
	global_store_dwordx2 v[4:5], v[12:13], off
	s_waitcnt_vscnt null, 0x0
	global_atomic_cmpswap_x2 v[2:3], v6, v[10:13], s[6:7] offset:32 glc
	s_waitcnt vmcnt(0)
	v_cmpx_ne_u64_e64 v[2:3], v[12:13]
	s_cbranch_execz .LBB6_551
; %bb.549:
	s_mov_b32 s11, 0
.LBB6_550:                              ; =>This Inner Loop Header: Depth=1
	v_mov_b32_e32 v0, s8
	v_mov_b32_e32 v1, s9
	s_sleep 1
	global_store_dwordx2 v[4:5], v[2:3], off
	s_waitcnt_vscnt null, 0x0
	global_atomic_cmpswap_x2 v[0:1], v6, v[0:3], s[6:7] offset:32 glc
	s_waitcnt vmcnt(0)
	v_cmp_eq_u64_e32 vcc_lo, v[0:1], v[2:3]
	v_mov_b32_e32 v3, v1
	v_mov_b32_e32 v2, v0
	s_or_b32 s11, vcc_lo, s11
	s_andn2_b32 exec_lo, exec_lo, s11
	s_cbranch_execnz .LBB6_550
.LBB6_551:
	s_or_b32 exec_lo, exec_lo, s10
	v_mov_b32_e32 v3, 0
	s_mov_b32 s11, exec_lo
	s_mov_b32 s10, exec_lo
	v_mbcnt_lo_u32_b32 v2, s11, 0
	global_load_dwordx2 v[0:1], v3, s[6:7] offset:16
	v_cmpx_eq_u32_e32 0, v2
	s_cbranch_execz .LBB6_553
; %bb.552:
	s_bcnt1_i32_b32 s11, s11
	v_mov_b32_e32 v2, s11
	s_waitcnt vmcnt(0)
	global_atomic_add_x2 v[0:1], v[2:3], off offset:8
.LBB6_553:
	s_or_b32 exec_lo, exec_lo, s10
	s_waitcnt vmcnt(0)
	global_load_dwordx2 v[2:3], v[0:1], off offset:16
	s_waitcnt vmcnt(0)
	v_cmp_eq_u64_e32 vcc_lo, 0, v[2:3]
	s_cbranch_vccnz .LBB6_555
; %bb.554:
	global_load_dword v0, v[0:1], off offset:24
	v_mov_b32_e32 v1, 0
	s_waitcnt vmcnt(0)
	v_readfirstlane_b32 s10, v0
	s_waitcnt_vscnt null, 0x0
	global_store_dwordx2 v[2:3], v[0:1], off
	s_and_b32 m0, s10, 0x7fffff
	s_sendmsg sendmsg(MSG_INTERRUPT)
.LBB6_555:
	s_or_b32 exec_lo, exec_lo, s5
	s_branch .LBB6_559
.LBB6_556:                              ;   in Loop: Header=BB6_559 Depth=1
	s_or_b32 exec_lo, exec_lo, s5
	v_readfirstlane_b32 s5, v0
	s_cmp_eq_u32 s5, 0
	s_cbranch_scc1 .LBB6_558
; %bb.557:                              ;   in Loop: Header=BB6_559 Depth=1
	s_sleep 1
	s_cbranch_execnz .LBB6_559
	s_branch .LBB6_561
.LBB6_558:
	s_branch .LBB6_561
.LBB6_559:                              ; =>This Inner Loop Header: Depth=1
	v_mov_b32_e32 v0, 1
	s_and_saveexec_b32 s5, s4
	s_cbranch_execz .LBB6_556
; %bb.560:                              ;   in Loop: Header=BB6_559 Depth=1
	global_load_dword v0, v[8:9], off offset:20 glc dlc
	s_waitcnt vmcnt(0)
	buffer_gl1_inv
	buffer_gl0_inv
	v_and_b32_e32 v0, 1, v0
	s_branch .LBB6_556
.LBB6_561:
	s_and_saveexec_b32 s10, s4
	s_cbranch_execz .LBB6_565
; %bb.562:
	v_mov_b32_e32 v6, 0
	s_clause 0x2
	global_load_dwordx2 v[0:1], v6, s[6:7] offset:40
	global_load_dwordx2 v[9:10], v6, s[6:7] offset:24 glc dlc
	global_load_dwordx2 v[2:3], v6, s[6:7]
	s_waitcnt vmcnt(2)
	v_readfirstlane_b32 s12, v0
	v_readfirstlane_b32 s13, v1
	s_add_u32 s11, s12, 1
	s_addc_u32 s14, s13, 0
	s_add_u32 s4, s11, s8
	s_addc_u32 s5, s14, s9
	s_cmp_eq_u64 s[4:5], 0
	s_cselect_b32 s5, s14, s5
	s_cselect_b32 s4, s11, s4
	v_mov_b32_e32 v8, s5
	s_and_b64 s[8:9], s[4:5], s[12:13]
	v_mov_b32_e32 v7, s4
	s_mul_i32 s9, s9, 24
	s_mul_hi_u32 s11, s8, 24
	s_mul_i32 s8, s8, 24
	s_add_i32 s11, s11, s9
	s_waitcnt vmcnt(0)
	v_add_co_u32 v4, vcc_lo, v2, s8
	v_add_co_ci_u32_e64 v5, null, s11, v3, vcc_lo
	global_store_dwordx2 v[4:5], v[9:10], off
	s_waitcnt_vscnt null, 0x0
	global_atomic_cmpswap_x2 v[2:3], v6, v[7:10], s[6:7] offset:24 glc
	s_waitcnt vmcnt(0)
	v_cmp_ne_u64_e32 vcc_lo, v[2:3], v[9:10]
	s_and_b32 exec_lo, exec_lo, vcc_lo
	s_cbranch_execz .LBB6_565
; %bb.563:
	s_mov_b32 s8, 0
.LBB6_564:                              ; =>This Inner Loop Header: Depth=1
	v_mov_b32_e32 v0, s4
	v_mov_b32_e32 v1, s5
	s_sleep 1
	global_store_dwordx2 v[4:5], v[2:3], off
	s_waitcnt_vscnt null, 0x0
	global_atomic_cmpswap_x2 v[0:1], v6, v[0:3], s[6:7] offset:24 glc
	s_waitcnt vmcnt(0)
	v_cmp_eq_u64_e32 vcc_lo, v[0:1], v[2:3]
	v_mov_b32_e32 v3, v1
	v_mov_b32_e32 v2, v0
	s_or_b32 s8, vcc_lo, s8
	s_andn2_b32 exec_lo, exec_lo, s8
	s_cbranch_execnz .LBB6_564
.LBB6_565:
	s_or_b32 exec_lo, exec_lo, s10
.LBB6_566:
	s_getpc_b64 s[4:5]
	s_add_u32 s4, s4, .str.29@rel32@lo+4
	s_addc_u32 s5, s5, .str.29@rel32@hi+12
	s_getpc_b64 s[6:7]
	s_add_u32 s6, s6, .str.19@rel32@lo+4
	s_addc_u32 s7, s7, .str.19@rel32@hi+12
	s_getpc_b64 s[8:9]
	s_add_u32 s8, s8, __PRETTY_FUNCTION__._ZN7VecsMemIjLi8192EE5fetchEi@rel32@lo+4
	s_addc_u32 s9, s9, __PRETTY_FUNCTION__._ZN7VecsMemIjLi8192EE5fetchEi@rel32@hi+12
	s_waitcnt vmcnt(0)
	v_mov_b32_e32 v0, s4
	v_mov_b32_e32 v1, s5
	v_mov_b32_e32 v2, s6
	v_mov_b32_e32 v3, s7
	v_mov_b32_e32 v4, 12
	v_mov_b32_e32 v5, s8
	v_mov_b32_e32 v6, s9
	s_getpc_b64 s[10:11]
	s_add_u32 s10, s10, __assert_fail@rel32@lo+4
	s_addc_u32 s11, s11, __assert_fail@rel32@hi+12
	s_mov_b64 s[8:9], s[52:53]
	s_swappc_b64 s[30:31], s[10:11]
	s_or_b32 s4, s23, exec_lo
.LBB6_567:
	s_or_b32 exec_lo, exec_lo, s21
	s_andn2_b32 s5, s23, exec_lo
	s_and_b32 s4, s4, exec_lo
	s_or_b32 s21, s5, s4
	s_orn2_b32 s4, s28, exec_lo
.LBB6_568:
	s_or_b32 exec_lo, exec_lo, s27
	s_mov_b32 s5, 0
                                        ; implicit-def: $vgpr41
	s_and_saveexec_b32 s46, s4
	s_cbranch_execz .LBB6_1819
; %bb.569:
	v_mov_b32_e32 v1, 0
	v_mov_b32_e32 v6, 0
	s_mov_b32 s9, 0
	s_mov_b32 s13, 0
	;; [unrolled: 1-line block ×3, first 2 shown]
	v_mov_b32_e32 v69, v1
	buffer_store_dword v68, off, s[0:3], s33 offset:116
	buffer_store_dword v67, off, s[0:3], s33 offset:112
                                        ; implicit-def: $sgpr12
	s_branch .LBB6_571
.LBB6_570:                              ;   in Loop: Header=BB6_571 Depth=1
	s_or_b32 exec_lo, exec_lo, s7
	s_xor_b32 s4, s6, -1
	s_and_b32 s5, exec_lo, s5
	s_or_b32 s13, s5, s13
	s_andn2_b32 s5, s12, exec_lo
	s_and_b32 s4, s4, exec_lo
	s_or_b32 s12, s5, s4
	s_andn2_b32 exec_lo, exec_lo, s13
	s_cbranch_execz .LBB6_611
.LBB6_571:                              ; =>This Loop Header: Depth=1
                                        ;     Child Loop BB6_574 Depth 2
                                        ;     Child Loop BB6_579 Depth 2
                                        ;       Child Loop BB6_583 Depth 3
                                        ;     Child Loop BB6_592 Depth 2
                                        ;       Child Loop BB6_596 Depth 3
	s_mov_b32 s11, s9
	s_lshl_b64 s[4:5], s[10:11], 2
	s_mov_b32 s11, exec_lo
	v_add_co_u32 v2, vcc_lo, v54, s4
	v_add_co_ci_u32_e64 v3, null, s5, v55, vcc_lo
	s_mov_b32 s4, -1
	flat_load_dword v0, v[2:3]
	s_waitcnt vmcnt(0) lgkmcnt(0)
	v_cmpx_lt_i32_e32 -1, v0
	s_cbranch_execz .LBB6_609
; %bb.572:                              ;   in Loop: Header=BB6_571 Depth=1
	v_mov_b32_e32 v4, v64
	v_mov_b32_e32 v5, v65
	s_mov_b32 s5, 0
	s_mov_b32 s6, 0
                                        ; implicit-def: $sgpr7
	s_branch .LBB6_574
	.p2align	6
.LBB6_573:                              ;   in Loop: Header=BB6_574 Depth=2
	s_or_b32 exec_lo, exec_lo, s8
	s_and_b32 s4, exec_lo, s7
	s_or_b32 s5, s4, s5
	s_andn2_b32 exec_lo, exec_lo, s5
	s_cbranch_execz .LBB6_576
.LBB6_574:                              ;   Parent Loop BB6_571 Depth=1
                                        ; =>  This Inner Loop Header: Depth=2
	flat_load_dword v8, v[4:5]
	s_or_b32 s7, s7, exec_lo
	s_waitcnt vmcnt(0) lgkmcnt(0)
	v_and_b32_e32 v7, v8, v0
	v_cmp_ne_u32_e32 vcc_lo, v7, v8
	v_mov_b32_e32 v7, s6
	s_and_saveexec_b32 s8, vcc_lo
	s_cbranch_execz .LBB6_573
; %bb.575:                              ;   in Loop: Header=BB6_574 Depth=2
	s_add_i32 s6, s6, 1
	v_add_co_u32 v4, s4, v4, 4
	v_cmp_eq_u32_e32 vcc_lo, s6, v66
	v_add_co_ci_u32_e64 v5, null, 0, v5, s4
	v_mov_b32_e32 v7, v66
	s_andn2_b32 s4, s7, exec_lo
	s_and_b32 s7, vcc_lo, exec_lo
	s_or_b32 s7, s4, s7
	s_branch .LBB6_573
.LBB6_576:                              ;   in Loop: Header=BB6_571 Depth=1
	s_or_b32 exec_lo, exec_lo, s5
	s_mov_b32 s4, -1
	s_mov_b32 s14, exec_lo
	v_cmpx_ne_u32_e64 v7, v66
	s_cbranch_execz .LBB6_608
; %bb.577:                              ;   in Loop: Header=BB6_571 Depth=1
	v_bfi_b32 v8, v8, 0, v0
	s_mov_b32 s7, 0
	v_cmp_lt_i32_e32 vcc_lo, 0, v56
	s_mov_b32 s8, s7
	s_branch .LBB6_579
.LBB6_578:                              ;   in Loop: Header=BB6_579 Depth=2
	s_or_b32 exec_lo, exec_lo, s6
	s_and_b32 s4, exec_lo, s15
	s_or_b32 s7, s4, s7
	s_andn2_b32 exec_lo, exec_lo, s7
	s_cbranch_execz .LBB6_589
.LBB6_579:                              ;   Parent Loop BB6_571 Depth=1
                                        ; =>  This Loop Header: Depth=2
                                        ;       Child Loop BB6_583 Depth 3
	s_mov_b32 s15, -1
	s_mov_b32 s5, -1
	s_mov_b32 s16, exec_lo
	v_cmpx_ne_u32_e64 s8, v7
	s_cbranch_execz .LBB6_587
; %bb.580:                              ;   in Loop: Header=BB6_579 Depth=2
	v_mov_b32_e32 v11, 0
	s_and_saveexec_b32 s17, vcc_lo
	s_cbranch_execz .LBB6_586
; %bb.581:                              ;   in Loop: Header=BB6_579 Depth=2
	s_lshl_b64 s[4:5], s[8:9], 2
	s_mov_b32 s18, 0
	v_add_co_u32 v4, s4, v64, s4
	v_add_co_ci_u32_e64 v5, null, s5, v65, s4
	s_mov_b32 s19, 0
                                        ; implicit-def: $sgpr20
	flat_load_dword v9, v[4:5]
	v_mov_b32_e32 v4, v54
	v_mov_b32_e32 v5, v55
	s_waitcnt vmcnt(0) lgkmcnt(0)
	v_not_b32_e32 v10, v9
	s_inst_prefetch 0x1
	s_branch .LBB6_583
	.p2align	6
.LBB6_582:                              ;   in Loop: Header=BB6_583 Depth=3
	s_or_b32 exec_lo, exec_lo, s6
	s_and_b32 s4, exec_lo, s20
	s_or_b32 s18, s4, s18
	s_andn2_b32 exec_lo, exec_lo, s18
	s_cbranch_execz .LBB6_585
.LBB6_583:                              ;   Parent Loop BB6_571 Depth=1
                                        ;     Parent Loop BB6_579 Depth=2
                                        ; =>    This Inner Loop Header: Depth=3
	flat_load_dword v6, v[4:5]
	s_or_b32 s20, s20, exec_lo
	s_waitcnt vmcnt(0) lgkmcnt(0)
	v_and_b32_e32 v11, v6, v9
	v_and_b32_e32 v12, v6, v10
	v_cmp_gt_i32_e64 s6, 0, v6
	v_cmp_ne_u32_e64 s4, v11, v9
	v_cmp_ne_u32_e64 s5, v8, v12
	v_mov_b32_e32 v11, s19
	s_or_b32 s4, s4, s5
	s_or_b32 s4, s4, s6
	s_and_saveexec_b32 s6, s4
	s_cbranch_execz .LBB6_582
; %bb.584:                              ;   in Loop: Header=BB6_583 Depth=3
	s_add_i32 s19, s19, 1
	v_add_co_u32 v4, s5, v4, 4
	v_cmp_eq_u32_e64 s4, s19, v56
	v_add_co_ci_u32_e64 v5, null, 0, v5, s5
	v_mov_b32_e32 v11, v56
	s_andn2_b32 s5, s20, exec_lo
	s_and_b32 s4, s4, exec_lo
	s_or_b32 s20, s5, s4
	s_branch .LBB6_582
.LBB6_585:                              ;   in Loop: Header=BB6_579 Depth=2
	s_inst_prefetch 0x2
	s_or_b32 exec_lo, exec_lo, s18
.LBB6_586:                              ;   in Loop: Header=BB6_579 Depth=2
	s_or_b32 exec_lo, exec_lo, s17
	v_cmp_ne_u32_e64 s4, v11, v56
	s_orn2_b32 s5, s4, exec_lo
.LBB6_587:                              ;   in Loop: Header=BB6_579 Depth=2
	s_or_b32 exec_lo, exec_lo, s16
	v_mov_b32_e32 v4, s8
	s_and_saveexec_b32 s6, s5
	s_cbranch_execz .LBB6_578
; %bb.588:                              ;   in Loop: Header=BB6_579 Depth=2
	s_add_i32 s8, s8, 1
	v_mov_b32_e32 v4, v66
	v_cmp_eq_u32_e64 s4, s8, v66
	s_orn2_b32 s15, s4, exec_lo
	s_branch .LBB6_578
.LBB6_589:                              ;   in Loop: Header=BB6_571 Depth=1
	s_or_b32 exec_lo, exec_lo, s7
	s_mov_b32 s4, -1
	s_mov_b32 s15, exec_lo
	v_cmpx_eq_u32_e64 v4, v66
	s_cbranch_execz .LBB6_607
; %bb.590:                              ;   in Loop: Header=BB6_571 Depth=1
	v_ashrrev_i32_e32 v70, 31, v69
	v_add_nc_u32_e32 v9, 1, v69
	v_or_b32_e32 v0, 0x80000000, v0
	s_mov_b32 s16, 0
                                        ; implicit-def: $sgpr17
	s_mov_b32 s8, s16
	v_lshlrev_b64 v[4:5], 2, v[69:70]
	buffer_store_dword v9, off, s[0:3], s33 offset:108
	v_add_co_u32 v4, vcc_lo, v67, v4
	v_add_co_ci_u32_e64 v5, null, v68, v5, vcc_lo
	flat_store_dword v[4:5], v8
	flat_store_dword v[2:3], v0
	s_branch .LBB6_592
.LBB6_591:                              ;   in Loop: Header=BB6_592 Depth=2
	s_or_b32 exec_lo, exec_lo, s6
	s_xor_b32 s4, s5, -1
	s_and_b32 s5, exec_lo, s18
	s_or_b32 s16, s5, s16
	s_andn2_b32 s5, s17, exec_lo
	s_and_b32 s4, s4, exec_lo
	s_or_b32 s17, s5, s4
	s_andn2_b32 exec_lo, exec_lo, s16
	s_cbranch_execz .LBB6_604
.LBB6_592:                              ;   Parent Loop BB6_571 Depth=1
                                        ; =>  This Loop Header: Depth=2
                                        ;       Child Loop BB6_596 Depth 3
	s_mov_b32 s18, -1
	s_mov_b32 s4, -1
	s_mov_b32 s19, exec_lo
	v_cmpx_ne_u32_e64 s8, v7
	s_cbranch_execz .LBB6_602
; %bb.593:                              ;   in Loop: Header=BB6_592 Depth=2
	flat_load_dword v0, v[52:53] offset:4
	v_mov_b32_e32 v4, 0
	v_mov_b32_e32 v5, 0
	s_mov_b32 s4, 0
	s_mov_b32 s20, exec_lo
	s_waitcnt vmcnt(0) lgkmcnt(0)
	v_cmpx_lt_i32_e32 0, v0
	s_cbranch_execz .LBB6_599
; %bb.594:                              ;   in Loop: Header=BB6_592 Depth=2
	s_lshl_b64 s[4:5], s[8:9], 2
	s_mov_b64 s[6:7], 0
	v_add_co_u32 v2, vcc_lo, v64, s4
	v_add_co_ci_u32_e64 v3, null, s5, v65, vcc_lo
	s_mov_b32 s27, 0
                                        ; implicit-def: $sgpr28
                                        ; implicit-def: $sgpr56
                                        ; implicit-def: $sgpr47
	flat_load_dword v10, v[2:3]
	v_mov_b32_e32 v2, v54
	v_mov_b32_e32 v3, v55
	s_waitcnt vmcnt(0) lgkmcnt(0)
	v_not_b32_e32 v11, v10
	s_inst_prefetch 0x1
	s_branch .LBB6_596
	.p2align	6
.LBB6_595:                              ;   in Loop: Header=BB6_596 Depth=3
	s_or_b32 exec_lo, exec_lo, s5
	s_and_b32 s4, exec_lo, s56
	s_or_b32 s27, s4, s27
	s_andn2_b32 s4, s28, exec_lo
	s_and_b32 s5, s47, exec_lo
	s_or_b32 s28, s4, s5
	s_andn2_b32 exec_lo, exec_lo, s27
	s_cbranch_execz .LBB6_598
.LBB6_596:                              ;   Parent Loop BB6_571 Depth=1
                                        ;     Parent Loop BB6_592 Depth=2
                                        ; =>    This Inner Loop Header: Depth=3
	flat_load_dword v6, v[2:3]
	s_or_b32 s47, s47, exec_lo
	s_or_b32 s56, s56, exec_lo
	s_waitcnt vmcnt(0) lgkmcnt(0)
	v_and_b32_e32 v4, v6, v10
	v_and_b32_e32 v5, v6, v11
	v_cmp_gt_i32_e64 s5, 0, v6
	v_cmp_ne_u32_e32 vcc_lo, v4, v10
	v_cmp_ne_u32_e64 s4, v8, v5
	v_mov_b32_e32 v4, s6
	v_mov_b32_e32 v5, s7
	s_or_b32 s4, vcc_lo, s4
	s_or_b32 s4, s4, s5
	s_and_saveexec_b32 s5, s4
	s_cbranch_execz .LBB6_595
; %bb.597:                              ;   in Loop: Header=BB6_596 Depth=3
	s_add_u32 s6, s6, 1
	v_add_co_u32 v2, s4, v2, 4
	v_cmp_eq_u32_e32 vcc_lo, s6, v0
	v_mov_b32_e32 v5, v1
	v_add_co_ci_u32_e64 v3, null, 0, v3, s4
	v_mov_b32_e32 v4, v0
	s_addc_u32 s7, s7, 0
	s_andn2_b32 s4, s56, exec_lo
	s_and_b32 s56, vcc_lo, exec_lo
	s_andn2_b32 s47, s47, exec_lo
	s_or_b32 s56, s4, s56
	s_branch .LBB6_595
.LBB6_598:                              ;   in Loop: Header=BB6_592 Depth=2
	s_inst_prefetch 0x2
	s_or_b32 exec_lo, exec_lo, s27
	s_and_b32 s4, s28, exec_lo
.LBB6_599:                              ;   in Loop: Header=BB6_592 Depth=2
	s_or_b32 exec_lo, exec_lo, s20
	s_mov_b32 s5, 0
	s_and_saveexec_b32 s6, s4
	s_cbranch_execz .LBB6_601
; %bb.600:                              ;   in Loop: Header=BB6_592 Depth=2
	v_lshlrev_b64 v[2:3], 2, v[4:5]
	v_or_b32_e32 v0, 0x80000000, v6
	s_mov_b32 s5, exec_lo
	v_add_co_u32 v2, vcc_lo, v54, v2
	v_add_co_ci_u32_e64 v3, null, v55, v3, vcc_lo
	flat_store_dword v[2:3], v0
.LBB6_601:                              ;   in Loop: Header=BB6_592 Depth=2
	s_or_b32 exec_lo, exec_lo, s6
	s_orn2_b32 s4, s5, exec_lo
.LBB6_602:                              ;   in Loop: Header=BB6_592 Depth=2
	s_or_b32 exec_lo, exec_lo, s19
	s_mov_b32 s5, -1
	s_and_saveexec_b32 s6, s4
	s_cbranch_execz .LBB6_591
; %bb.603:                              ;   in Loop: Header=BB6_592 Depth=2
	s_add_i32 s8, s8, 1
	s_xor_b32 s5, exec_lo, -1
	v_cmp_eq_u32_e32 vcc_lo, s8, v66
	s_orn2_b32 s18, vcc_lo, exec_lo
	s_branch .LBB6_591
.LBB6_604:                              ;   in Loop: Header=BB6_571 Depth=1
	s_or_b32 exec_lo, exec_lo, s16
	s_mov_b32 s4, 0
                                        ; implicit-def: $vgpr56
	s_and_saveexec_b32 s5, s17
	s_xor_b32 s5, exec_lo, s5
	s_cbranch_execz .LBB6_606
; %bb.605:                              ;   in Loop: Header=BB6_571 Depth=1
	flat_load_dword v56, v[52:53] offset:4
	s_mov_b32 s4, exec_lo
.LBB6_606:                              ;   in Loop: Header=BB6_571 Depth=1
	s_or_b32 exec_lo, exec_lo, s5
	v_mov_b32_e32 v69, v9
	s_orn2_b32 s4, s4, exec_lo
.LBB6_607:                              ;   in Loop: Header=BB6_571 Depth=1
	s_or_b32 exec_lo, exec_lo, s15
	s_orn2_b32 s4, s4, exec_lo
.LBB6_608:                              ;   in Loop: Header=BB6_571 Depth=1
	s_or_b32 exec_lo, exec_lo, s14
	s_orn2_b32 s4, s4, exec_lo
.LBB6_609:                              ;   in Loop: Header=BB6_571 Depth=1
	s_or_b32 exec_lo, exec_lo, s11
	s_mov_b32 s5, -1
	s_mov_b32 s6, -1
	s_and_saveexec_b32 s7, s4
	s_cbranch_execz .LBB6_570
; %bb.610:                              ;   in Loop: Header=BB6_571 Depth=1
	s_add_i32 s10, s10, 1
	s_xor_b32 s6, exec_lo, -1
	s_waitcnt vmcnt(0) lgkmcnt(0)
	v_cmp_ge_i32_e32 vcc_lo, s10, v56
	s_orn2_b32 s5, vcc_lo, exec_lo
	s_branch .LBB6_570
.LBB6_611:
	s_or_b32 exec_lo, exec_lo, s13
	s_mov_b32 s27, 0
	s_mov_b32 s28, s21
                                        ; implicit-def: $vgpr41
	s_and_saveexec_b32 s4, s12
	s_xor_b32 s47, exec_lo, s4
	s_cbranch_execz .LBB6_1816
; %bb.612:
	v_mul_lo_u32 v70, v69, v66
	v_mov_b32_e32 v65, 0
	v_mov_b32_e32 v0, 0
	v_mov_b32_e32 v66, 0
	s_mov_b32 s4, -1
	s_mov_b32 s27, s21
	s_mov_b32 s28, exec_lo
	buffer_store_dword v0, off, s[0:3], s33 offset:140
	s_waitcnt vmcnt(0) lgkmcnt(0)
	v_sub_nc_u32_e32 v64, v56, v70
	v_cmpx_lt_i32_e32 0, v64
	s_cbranch_execz .LBB6_759
; %bb.613:
	flat_load_dword v0, v[44:45]
	v_mov_b32_e32 v65, 0
	v_mov_b32_e32 v66, 0
	s_mov_b32 s56, 0
	s_mov_b32 s4, exec_lo
	s_waitcnt vmcnt(0) lgkmcnt(0)
	v_add_nc_u32_e32 v0, v0, v64
	v_cmpx_gt_i32_e32 0x2001, v0
	s_xor_b32 s4, exec_lo, s4
	s_cbranch_execz .LBB6_615
; %bb.614:
	v_ashrrev_i32_e32 v1, 31, v0
	v_mov_b32_e32 v65, 0
	s_mov_b32 s56, exec_lo
	flat_store_dword v[44:45], v0
	v_lshlrev_b64 v[1:2], 2, v[0:1]
	v_lshlrev_b64 v[3:4], 2, v[64:65]
	v_add_co_u32 v1, vcc_lo, v44, v1
	v_add_co_ci_u32_e64 v2, null, v45, v2, vcc_lo
	v_sub_co_u32 v1, vcc_lo, v1, v3
	v_sub_co_ci_u32_e64 v2, null, v2, v4, vcc_lo
	v_add_co_u32 v65, vcc_lo, v1, 4
	v_add_co_ci_u32_e64 v66, null, 0, v2, vcc_lo
.LBB6_615:
	s_or_saveexec_b32 s27, s4
	s_mov_b32 s4, s21
	s_xor_b32 exec_lo, exec_lo, s27
	s_cbranch_execz .LBB6_758
; %bb.616:
	s_load_dwordx2 s[6:7], s[52:53], 0x50
	v_mbcnt_lo_u32_b32 v29, -1, 0
	v_mov_b32_e32 v6, 0
	v_mov_b32_e32 v7, 0
	v_readfirstlane_b32 s4, v29
	v_cmp_eq_u32_e64 s4, s4, v29
	s_and_saveexec_b32 s5, s4
	s_cbranch_execz .LBB6_622
; %bb.617:
	v_mov_b32_e32 v0, 0
	s_mov_b32 s8, exec_lo
	s_waitcnt lgkmcnt(0)
	global_load_dwordx2 v[3:4], v0, s[6:7] offset:24 glc dlc
	s_waitcnt vmcnt(0)
	buffer_gl1_inv
	buffer_gl0_inv
	s_clause 0x1
	global_load_dwordx2 v[1:2], v0, s[6:7] offset:40
	global_load_dwordx2 v[5:6], v0, s[6:7]
	s_waitcnt vmcnt(1)
	v_and_b32_e32 v2, v2, v4
	v_and_b32_e32 v1, v1, v3
	v_mul_lo_u32 v2, v2, 24
	v_mul_hi_u32 v7, v1, 24
	v_mul_lo_u32 v1, v1, 24
	v_add_nc_u32_e32 v2, v7, v2
	s_waitcnt vmcnt(0)
	v_add_co_u32 v1, vcc_lo, v5, v1
	v_add_co_ci_u32_e64 v2, null, v6, v2, vcc_lo
	global_load_dwordx2 v[1:2], v[1:2], off glc dlc
	s_waitcnt vmcnt(0)
	global_atomic_cmpswap_x2 v[6:7], v0, v[1:4], s[6:7] offset:24 glc
	s_waitcnt vmcnt(0)
	buffer_gl1_inv
	buffer_gl0_inv
	v_cmpx_ne_u64_e64 v[6:7], v[3:4]
	s_cbranch_execz .LBB6_621
; %bb.618:
	s_mov_b32 s9, 0
.LBB6_619:                              ; =>This Inner Loop Header: Depth=1
	s_sleep 1
	s_clause 0x1
	global_load_dwordx2 v[1:2], v0, s[6:7] offset:40
	global_load_dwordx2 v[8:9], v0, s[6:7]
	v_mov_b32_e32 v3, v6
	v_mov_b32_e32 v4, v7
	s_waitcnt vmcnt(1)
	v_and_b32_e32 v1, v1, v3
	v_and_b32_e32 v2, v2, v4
	s_waitcnt vmcnt(0)
	v_mad_u64_u32 v[5:6], null, v1, 24, v[8:9]
	v_mov_b32_e32 v1, v6
	v_mad_u64_u32 v[1:2], null, v2, 24, v[1:2]
	v_mov_b32_e32 v6, v1
	global_load_dwordx2 v[1:2], v[5:6], off glc dlc
	s_waitcnt vmcnt(0)
	global_atomic_cmpswap_x2 v[6:7], v0, v[1:4], s[6:7] offset:24 glc
	s_waitcnt vmcnt(0)
	buffer_gl1_inv
	buffer_gl0_inv
	v_cmp_eq_u64_e32 vcc_lo, v[6:7], v[3:4]
	s_or_b32 s9, vcc_lo, s9
	s_andn2_b32 exec_lo, exec_lo, s9
	s_cbranch_execnz .LBB6_619
; %bb.620:
	s_or_b32 exec_lo, exec_lo, s9
.LBB6_621:
	s_or_b32 exec_lo, exec_lo, s8
.LBB6_622:
	s_or_b32 exec_lo, exec_lo, s5
	v_mov_b32_e32 v5, 0
	v_readfirstlane_b32 s9, v7
	v_readfirstlane_b32 s8, v6
	s_mov_b32 s5, exec_lo
	s_waitcnt lgkmcnt(0)
	s_clause 0x1
	global_load_dwordx2 v[8:9], v5, s[6:7] offset:40
	global_load_dwordx4 v[0:3], v5, s[6:7]
	s_waitcnt vmcnt(1)
	v_readfirstlane_b32 s10, v8
	v_readfirstlane_b32 s11, v9
	s_and_b64 s[10:11], s[10:11], s[8:9]
	s_mul_i32 s12, s11, 24
	s_mul_hi_u32 s13, s10, 24
	s_mul_i32 s14, s10, 24
	s_add_i32 s13, s13, s12
	s_waitcnt vmcnt(0)
	v_add_co_u32 v8, vcc_lo, v0, s14
	v_add_co_ci_u32_e64 v9, null, s13, v1, vcc_lo
	s_and_saveexec_b32 s12, s4
	s_cbranch_execz .LBB6_624
; %bb.623:
	v_mov_b32_e32 v4, s5
	v_mov_b32_e32 v6, 2
	;; [unrolled: 1-line block ×3, first 2 shown]
	global_store_dwordx4 v[8:9], v[4:7], off offset:8
.LBB6_624:
	s_or_b32 exec_lo, exec_lo, s12
	s_lshl_b64 s[10:11], s[10:11], 12
	v_lshlrev_b32_e32 v28, 6, v29
	v_add_co_u32 v2, vcc_lo, v2, s10
	v_add_co_ci_u32_e64 v3, null, s11, v3, vcc_lo
	s_mov_b32 s12, 0
	v_add_co_u32 v10, vcc_lo, v2, v28
	s_mov_b32 s13, s12
	s_mov_b32 s14, s12
	;; [unrolled: 1-line block ×3, first 2 shown]
	v_mov_b32_e32 v4, 33
	v_mov_b32_e32 v6, v5
	;; [unrolled: 1-line block ×3, first 2 shown]
	v_readfirstlane_b32 s10, v2
	v_readfirstlane_b32 s11, v3
	v_mov_b32_e32 v12, s12
	v_add_co_ci_u32_e64 v11, null, 0, v3, vcc_lo
	v_mov_b32_e32 v13, s13
	v_mov_b32_e32 v14, s14
	;; [unrolled: 1-line block ×3, first 2 shown]
	global_store_dwordx4 v28, v[4:7], s[10:11]
	global_store_dwordx4 v28, v[12:15], s[10:11] offset:16
	global_store_dwordx4 v28, v[12:15], s[10:11] offset:32
	;; [unrolled: 1-line block ×3, first 2 shown]
	s_and_saveexec_b32 s5, s4
	s_cbranch_execz .LBB6_632
; %bb.625:
	v_mov_b32_e32 v6, 0
	v_mov_b32_e32 v12, s8
	;; [unrolled: 1-line block ×3, first 2 shown]
	s_mov_b32 s10, exec_lo
	s_clause 0x1
	global_load_dwordx2 v[14:15], v6, s[6:7] offset:32 glc dlc
	global_load_dwordx2 v[2:3], v6, s[6:7] offset:40
	s_waitcnt vmcnt(0)
	v_and_b32_e32 v3, s9, v3
	v_and_b32_e32 v2, s8, v2
	v_mul_lo_u32 v3, v3, 24
	v_mul_hi_u32 v4, v2, 24
	v_mul_lo_u32 v2, v2, 24
	v_add_nc_u32_e32 v3, v4, v3
	v_add_co_u32 v4, vcc_lo, v0, v2
	v_add_co_ci_u32_e64 v5, null, v1, v3, vcc_lo
	global_store_dwordx2 v[4:5], v[14:15], off
	s_waitcnt_vscnt null, 0x0
	global_atomic_cmpswap_x2 v[2:3], v6, v[12:15], s[6:7] offset:32 glc
	s_waitcnt vmcnt(0)
	v_cmpx_ne_u64_e64 v[2:3], v[14:15]
	s_cbranch_execz .LBB6_628
; %bb.626:
	s_mov_b32 s11, 0
.LBB6_627:                              ; =>This Inner Loop Header: Depth=1
	v_mov_b32_e32 v0, s8
	v_mov_b32_e32 v1, s9
	s_sleep 1
	global_store_dwordx2 v[4:5], v[2:3], off
	s_waitcnt_vscnt null, 0x0
	global_atomic_cmpswap_x2 v[0:1], v6, v[0:3], s[6:7] offset:32 glc
	s_waitcnt vmcnt(0)
	v_cmp_eq_u64_e32 vcc_lo, v[0:1], v[2:3]
	v_mov_b32_e32 v3, v1
	v_mov_b32_e32 v2, v0
	s_or_b32 s11, vcc_lo, s11
	s_andn2_b32 exec_lo, exec_lo, s11
	s_cbranch_execnz .LBB6_627
.LBB6_628:
	s_or_b32 exec_lo, exec_lo, s10
	v_mov_b32_e32 v3, 0
	s_mov_b32 s11, exec_lo
	s_mov_b32 s10, exec_lo
	v_mbcnt_lo_u32_b32 v2, s11, 0
	global_load_dwordx2 v[0:1], v3, s[6:7] offset:16
	v_cmpx_eq_u32_e32 0, v2
	s_cbranch_execz .LBB6_630
; %bb.629:
	s_bcnt1_i32_b32 s11, s11
	v_mov_b32_e32 v2, s11
	s_waitcnt vmcnt(0)
	global_atomic_add_x2 v[0:1], v[2:3], off offset:8
.LBB6_630:
	s_or_b32 exec_lo, exec_lo, s10
	s_waitcnt vmcnt(0)
	global_load_dwordx2 v[2:3], v[0:1], off offset:16
	s_waitcnt vmcnt(0)
	v_cmp_eq_u64_e32 vcc_lo, 0, v[2:3]
	s_cbranch_vccnz .LBB6_632
; %bb.631:
	global_load_dword v0, v[0:1], off offset:24
	v_mov_b32_e32 v1, 0
	s_waitcnt vmcnt(0)
	v_readfirstlane_b32 s10, v0
	s_waitcnt_vscnt null, 0x0
	global_store_dwordx2 v[2:3], v[0:1], off
	s_and_b32 m0, s10, 0x7fffff
	s_sendmsg sendmsg(MSG_INTERRUPT)
.LBB6_632:
	s_or_b32 exec_lo, exec_lo, s5
	s_branch .LBB6_636
.LBB6_633:                              ;   in Loop: Header=BB6_636 Depth=1
	s_or_b32 exec_lo, exec_lo, s5
	v_readfirstlane_b32 s5, v0
	s_cmp_eq_u32 s5, 0
	s_cbranch_scc1 .LBB6_635
; %bb.634:                              ;   in Loop: Header=BB6_636 Depth=1
	s_sleep 1
	s_cbranch_execnz .LBB6_636
	s_branch .LBB6_638
.LBB6_635:
	s_branch .LBB6_638
.LBB6_636:                              ; =>This Inner Loop Header: Depth=1
	v_mov_b32_e32 v0, 1
	s_and_saveexec_b32 s5, s4
	s_cbranch_execz .LBB6_633
; %bb.637:                              ;   in Loop: Header=BB6_636 Depth=1
	global_load_dword v0, v[8:9], off offset:20 glc dlc
	s_waitcnt vmcnt(0)
	buffer_gl1_inv
	buffer_gl0_inv
	v_and_b32_e32 v0, 1, v0
	s_branch .LBB6_633
.LBB6_638:
	global_load_dwordx2 v[0:1], v[10:11], off
	s_and_saveexec_b32 s10, s4
	s_cbranch_execz .LBB6_642
; %bb.639:
	v_mov_b32_e32 v8, 0
	s_clause 0x2
	global_load_dwordx2 v[2:3], v8, s[6:7] offset:40
	global_load_dwordx2 v[11:12], v8, s[6:7] offset:24 glc dlc
	global_load_dwordx2 v[4:5], v8, s[6:7]
	s_waitcnt vmcnt(2)
	v_readfirstlane_b32 s12, v2
	v_readfirstlane_b32 s13, v3
	s_add_u32 s11, s12, 1
	s_addc_u32 s14, s13, 0
	s_add_u32 s4, s11, s8
	s_addc_u32 s5, s14, s9
	s_cmp_eq_u64 s[4:5], 0
	s_cselect_b32 s5, s14, s5
	s_cselect_b32 s4, s11, s4
	v_mov_b32_e32 v10, s5
	s_and_b64 s[8:9], s[4:5], s[12:13]
	v_mov_b32_e32 v9, s4
	s_mul_i32 s9, s9, 24
	s_mul_hi_u32 s11, s8, 24
	s_mul_i32 s8, s8, 24
	s_add_i32 s11, s11, s9
	s_waitcnt vmcnt(0)
	v_add_co_u32 v6, vcc_lo, v4, s8
	v_add_co_ci_u32_e64 v7, null, s11, v5, vcc_lo
	global_store_dwordx2 v[6:7], v[11:12], off
	s_waitcnt_vscnt null, 0x0
	global_atomic_cmpswap_x2 v[4:5], v8, v[9:12], s[6:7] offset:24 glc
	s_waitcnt vmcnt(0)
	v_cmp_ne_u64_e32 vcc_lo, v[4:5], v[11:12]
	s_and_b32 exec_lo, exec_lo, vcc_lo
	s_cbranch_execz .LBB6_642
; %bb.640:
	s_mov_b32 s8, 0
.LBB6_641:                              ; =>This Inner Loop Header: Depth=1
	v_mov_b32_e32 v2, s4
	v_mov_b32_e32 v3, s5
	s_sleep 1
	global_store_dwordx2 v[6:7], v[4:5], off
	s_waitcnt_vscnt null, 0x0
	global_atomic_cmpswap_x2 v[2:3], v8, v[2:5], s[6:7] offset:24 glc
	s_waitcnt vmcnt(0)
	v_cmp_eq_u64_e32 vcc_lo, v[2:3], v[4:5]
	v_mov_b32_e32 v5, v3
	v_mov_b32_e32 v4, v2
	s_or_b32 s8, vcc_lo, s8
	s_andn2_b32 exec_lo, exec_lo, s8
	s_cbranch_execnz .LBB6_641
.LBB6_642:
	s_or_b32 exec_lo, exec_lo, s10
	s_getpc_b64 s[8:9]
	s_add_u32 s8, s8, .str.28@rel32@lo+4
	s_addc_u32 s9, s9, .str.28@rel32@hi+12
	s_cmp_lg_u64 s[8:9], 0
	s_cbranch_scc0 .LBB6_728
; %bb.643:
	s_waitcnt vmcnt(0)
	v_and_b32_e32 v6, -3, v0
	v_mov_b32_e32 v7, v1
	v_mov_b32_e32 v3, 0
	;; [unrolled: 1-line block ×4, first 2 shown]
	s_mov_b64 s[10:11], 35
	s_branch .LBB6_645
.LBB6_644:                              ;   in Loop: Header=BB6_645 Depth=1
	s_or_b32 exec_lo, exec_lo, s16
	s_sub_u32 s10, s10, s12
	s_subb_u32 s11, s11, s13
	s_add_u32 s8, s8, s12
	s_addc_u32 s9, s9, s13
	s_cmp_lg_u64 s[10:11], 0
	s_cbranch_scc0 .LBB6_727
.LBB6_645:                              ; =>This Loop Header: Depth=1
                                        ;     Child Loop BB6_648 Depth 2
                                        ;     Child Loop BB6_656 Depth 2
	;; [unrolled: 1-line block ×11, first 2 shown]
	v_cmp_lt_u64_e64 s4, s[10:11], 56
	v_cmp_gt_u64_e64 s14, s[10:11], 7
	s_and_b32 s4, s4, exec_lo
	s_cselect_b32 s13, s11, 0
	s_cselect_b32 s12, s10, 56
	s_add_u32 s4, s8, 8
	s_addc_u32 s5, s9, 0
	s_and_b32 vcc_lo, exec_lo, s14
	s_cbranch_vccnz .LBB6_650
; %bb.646:                              ;   in Loop: Header=BB6_645 Depth=1
	s_waitcnt vmcnt(0)
	v_mov_b32_e32 v8, 0
	v_mov_b32_e32 v9, 0
	s_cmp_eq_u64 s[10:11], 0
	s_cbranch_scc1 .LBB6_649
; %bb.647:                              ;   in Loop: Header=BB6_645 Depth=1
	s_lshl_b64 s[4:5], s[12:13], 3
	s_mov_b64 s[14:15], 0
	s_mov_b64 s[16:17], s[8:9]
.LBB6_648:                              ;   Parent Loop BB6_645 Depth=1
                                        ; =>  This Inner Loop Header: Depth=2
	global_load_ubyte v2, v3, s[16:17]
	s_waitcnt vmcnt(0)
	v_and_b32_e32 v2, 0xffff, v2
	v_lshlrev_b64 v[10:11], s14, v[2:3]
	s_add_u32 s14, s14, 8
	s_addc_u32 s15, s15, 0
	s_add_u32 s16, s16, 1
	s_addc_u32 s17, s17, 0
	s_cmp_lg_u32 s4, s14
	v_or_b32_e32 v8, v10, v8
	v_or_b32_e32 v9, v11, v9
	s_cbranch_scc1 .LBB6_648
.LBB6_649:                              ;   in Loop: Header=BB6_645 Depth=1
	s_mov_b32 s14, 0
	s_mov_b64 s[4:5], s[8:9]
	s_branch .LBB6_651
.LBB6_650:                              ;   in Loop: Header=BB6_645 Depth=1
	s_mov_b32 s14, -1
.LBB6_651:                              ;   in Loop: Header=BB6_645 Depth=1
	s_andn2_b32 vcc_lo, exec_lo, s14
	s_mov_b32 s18, 0
	s_cbranch_vccnz .LBB6_653
; %bb.652:                              ;   in Loop: Header=BB6_645 Depth=1
	global_load_dwordx2 v[8:9], v3, s[8:9]
	s_add_i32 s18, s12, -8
.LBB6_653:                              ;   in Loop: Header=BB6_645 Depth=1
	s_add_u32 s14, s4, 8
	s_addc_u32 s15, s5, 0
	s_cmp_gt_u32 s18, 7
	s_cbranch_scc1 .LBB6_658
; %bb.654:                              ;   in Loop: Header=BB6_645 Depth=1
	v_mov_b32_e32 v10, 0
	v_mov_b32_e32 v11, 0
	s_cmp_eq_u32 s18, 0
	s_cbranch_scc1 .LBB6_657
; %bb.655:                              ;   in Loop: Header=BB6_645 Depth=1
	s_mov_b64 s[14:15], 0
	s_mov_b64 s[16:17], 0
.LBB6_656:                              ;   Parent Loop BB6_645 Depth=1
                                        ; =>  This Inner Loop Header: Depth=2
	s_add_u32 s58, s4, s16
	s_addc_u32 s59, s5, s17
	s_add_u32 s16, s16, 1
	global_load_ubyte v2, v3, s[58:59]
	s_addc_u32 s17, s17, 0
	s_waitcnt vmcnt(0)
	v_and_b32_e32 v2, 0xffff, v2
	v_lshlrev_b64 v[12:13], s14, v[2:3]
	s_add_u32 s14, s14, 8
	s_addc_u32 s15, s15, 0
	s_cmp_lg_u32 s18, s16
	v_or_b32_e32 v10, v12, v10
	v_or_b32_e32 v11, v13, v11
	s_cbranch_scc1 .LBB6_656
.LBB6_657:                              ;   in Loop: Header=BB6_645 Depth=1
	s_mov_b32 s16, 0
	s_mov_b64 s[14:15], s[4:5]
	s_branch .LBB6_659
.LBB6_658:                              ;   in Loop: Header=BB6_645 Depth=1
	s_mov_b32 s16, -1
                                        ; implicit-def: $vgpr10_vgpr11
.LBB6_659:                              ;   in Loop: Header=BB6_645 Depth=1
	s_andn2_b32 vcc_lo, exec_lo, s16
	s_mov_b32 s19, 0
	s_cbranch_vccnz .LBB6_661
; %bb.660:                              ;   in Loop: Header=BB6_645 Depth=1
	global_load_dwordx2 v[10:11], v3, s[4:5]
	s_add_i32 s19, s18, -8
.LBB6_661:                              ;   in Loop: Header=BB6_645 Depth=1
	s_add_u32 s4, s14, 8
	s_addc_u32 s5, s15, 0
	s_cmp_gt_u32 s19, 7
	s_cbranch_scc1 .LBB6_666
; %bb.662:                              ;   in Loop: Header=BB6_645 Depth=1
	v_mov_b32_e32 v12, 0
	v_mov_b32_e32 v13, 0
	s_cmp_eq_u32 s19, 0
	s_cbranch_scc1 .LBB6_665
; %bb.663:                              ;   in Loop: Header=BB6_645 Depth=1
	s_mov_b64 s[4:5], 0
	s_mov_b64 s[16:17], 0
.LBB6_664:                              ;   Parent Loop BB6_645 Depth=1
                                        ; =>  This Inner Loop Header: Depth=2
	s_add_u32 s58, s14, s16
	s_addc_u32 s59, s15, s17
	s_add_u32 s16, s16, 1
	global_load_ubyte v2, v3, s[58:59]
	s_addc_u32 s17, s17, 0
	s_waitcnt vmcnt(0)
	v_and_b32_e32 v2, 0xffff, v2
	v_lshlrev_b64 v[14:15], s4, v[2:3]
	s_add_u32 s4, s4, 8
	s_addc_u32 s5, s5, 0
	s_cmp_lg_u32 s19, s16
	v_or_b32_e32 v12, v14, v12
	v_or_b32_e32 v13, v15, v13
	s_cbranch_scc1 .LBB6_664
.LBB6_665:                              ;   in Loop: Header=BB6_645 Depth=1
	s_mov_b32 s16, 0
	s_mov_b64 s[4:5], s[14:15]
	s_branch .LBB6_667
.LBB6_666:                              ;   in Loop: Header=BB6_645 Depth=1
	s_mov_b32 s16, -1
.LBB6_667:                              ;   in Loop: Header=BB6_645 Depth=1
	s_andn2_b32 vcc_lo, exec_lo, s16
	s_mov_b32 s18, 0
	s_cbranch_vccnz .LBB6_669
; %bb.668:                              ;   in Loop: Header=BB6_645 Depth=1
	global_load_dwordx2 v[12:13], v3, s[14:15]
	s_add_i32 s18, s19, -8
.LBB6_669:                              ;   in Loop: Header=BB6_645 Depth=1
	s_add_u32 s14, s4, 8
	s_addc_u32 s15, s5, 0
	s_cmp_gt_u32 s18, 7
	s_cbranch_scc1 .LBB6_674
; %bb.670:                              ;   in Loop: Header=BB6_645 Depth=1
	v_mov_b32_e32 v14, 0
	v_mov_b32_e32 v15, 0
	s_cmp_eq_u32 s18, 0
	s_cbranch_scc1 .LBB6_673
; %bb.671:                              ;   in Loop: Header=BB6_645 Depth=1
	s_mov_b64 s[14:15], 0
	s_mov_b64 s[16:17], 0
.LBB6_672:                              ;   Parent Loop BB6_645 Depth=1
                                        ; =>  This Inner Loop Header: Depth=2
	s_add_u32 s58, s4, s16
	s_addc_u32 s59, s5, s17
	s_add_u32 s16, s16, 1
	global_load_ubyte v2, v3, s[58:59]
	s_addc_u32 s17, s17, 0
	s_waitcnt vmcnt(0)
	v_and_b32_e32 v2, 0xffff, v2
	v_lshlrev_b64 v[16:17], s14, v[2:3]
	s_add_u32 s14, s14, 8
	s_addc_u32 s15, s15, 0
	s_cmp_lg_u32 s18, s16
	v_or_b32_e32 v14, v16, v14
	v_or_b32_e32 v15, v17, v15
	s_cbranch_scc1 .LBB6_672
.LBB6_673:                              ;   in Loop: Header=BB6_645 Depth=1
	s_mov_b32 s16, 0
	s_mov_b64 s[14:15], s[4:5]
	s_branch .LBB6_675
.LBB6_674:                              ;   in Loop: Header=BB6_645 Depth=1
	s_mov_b32 s16, -1
                                        ; implicit-def: $vgpr14_vgpr15
.LBB6_675:                              ;   in Loop: Header=BB6_645 Depth=1
	s_andn2_b32 vcc_lo, exec_lo, s16
	s_mov_b32 s19, 0
	s_cbranch_vccnz .LBB6_677
; %bb.676:                              ;   in Loop: Header=BB6_645 Depth=1
	global_load_dwordx2 v[14:15], v3, s[4:5]
	s_add_i32 s19, s18, -8
.LBB6_677:                              ;   in Loop: Header=BB6_645 Depth=1
	s_add_u32 s4, s14, 8
	s_addc_u32 s5, s15, 0
	s_cmp_gt_u32 s19, 7
	s_cbranch_scc1 .LBB6_682
; %bb.678:                              ;   in Loop: Header=BB6_645 Depth=1
	v_mov_b32_e32 v16, 0
	v_mov_b32_e32 v17, 0
	s_cmp_eq_u32 s19, 0
	s_cbranch_scc1 .LBB6_681
; %bb.679:                              ;   in Loop: Header=BB6_645 Depth=1
	s_mov_b64 s[4:5], 0
	s_mov_b64 s[16:17], 0
.LBB6_680:                              ;   Parent Loop BB6_645 Depth=1
                                        ; =>  This Inner Loop Header: Depth=2
	s_add_u32 s58, s14, s16
	s_addc_u32 s59, s15, s17
	s_add_u32 s16, s16, 1
	global_load_ubyte v2, v3, s[58:59]
	s_addc_u32 s17, s17, 0
	s_waitcnt vmcnt(0)
	v_and_b32_e32 v2, 0xffff, v2
	v_lshlrev_b64 v[18:19], s4, v[2:3]
	s_add_u32 s4, s4, 8
	s_addc_u32 s5, s5, 0
	s_cmp_lg_u32 s19, s16
	v_or_b32_e32 v16, v18, v16
	v_or_b32_e32 v17, v19, v17
	s_cbranch_scc1 .LBB6_680
.LBB6_681:                              ;   in Loop: Header=BB6_645 Depth=1
	s_mov_b32 s16, 0
	s_mov_b64 s[4:5], s[14:15]
	s_branch .LBB6_683
.LBB6_682:                              ;   in Loop: Header=BB6_645 Depth=1
	s_mov_b32 s16, -1
.LBB6_683:                              ;   in Loop: Header=BB6_645 Depth=1
	s_andn2_b32 vcc_lo, exec_lo, s16
	s_mov_b32 s18, 0
	s_cbranch_vccnz .LBB6_685
; %bb.684:                              ;   in Loop: Header=BB6_645 Depth=1
	global_load_dwordx2 v[16:17], v3, s[14:15]
	s_add_i32 s18, s19, -8
.LBB6_685:                              ;   in Loop: Header=BB6_645 Depth=1
	s_add_u32 s14, s4, 8
	s_addc_u32 s15, s5, 0
	s_cmp_gt_u32 s18, 7
	s_cbranch_scc1 .LBB6_690
; %bb.686:                              ;   in Loop: Header=BB6_645 Depth=1
	v_mov_b32_e32 v18, 0
	v_mov_b32_e32 v19, 0
	s_cmp_eq_u32 s18, 0
	s_cbranch_scc1 .LBB6_689
; %bb.687:                              ;   in Loop: Header=BB6_645 Depth=1
	s_mov_b64 s[14:15], 0
	s_mov_b64 s[16:17], 0
.LBB6_688:                              ;   Parent Loop BB6_645 Depth=1
                                        ; =>  This Inner Loop Header: Depth=2
	s_add_u32 s58, s4, s16
	s_addc_u32 s59, s5, s17
	s_add_u32 s16, s16, 1
	global_load_ubyte v2, v3, s[58:59]
	s_addc_u32 s17, s17, 0
	s_waitcnt vmcnt(0)
	v_and_b32_e32 v2, 0xffff, v2
	v_lshlrev_b64 v[20:21], s14, v[2:3]
	s_add_u32 s14, s14, 8
	s_addc_u32 s15, s15, 0
	s_cmp_lg_u32 s18, s16
	v_or_b32_e32 v18, v20, v18
	v_or_b32_e32 v19, v21, v19
	s_cbranch_scc1 .LBB6_688
.LBB6_689:                              ;   in Loop: Header=BB6_645 Depth=1
	s_mov_b32 s16, 0
	s_mov_b64 s[14:15], s[4:5]
	s_branch .LBB6_691
.LBB6_690:                              ;   in Loop: Header=BB6_645 Depth=1
	s_mov_b32 s16, -1
                                        ; implicit-def: $vgpr18_vgpr19
.LBB6_691:                              ;   in Loop: Header=BB6_645 Depth=1
	s_andn2_b32 vcc_lo, exec_lo, s16
	s_mov_b32 s19, 0
	s_cbranch_vccnz .LBB6_693
; %bb.692:                              ;   in Loop: Header=BB6_645 Depth=1
	global_load_dwordx2 v[18:19], v3, s[4:5]
	s_add_i32 s19, s18, -8
.LBB6_693:                              ;   in Loop: Header=BB6_645 Depth=1
	s_cmp_gt_u32 s19, 7
	s_cbranch_scc1 .LBB6_698
; %bb.694:                              ;   in Loop: Header=BB6_645 Depth=1
	v_mov_b32_e32 v20, 0
	v_mov_b32_e32 v21, 0
	s_cmp_eq_u32 s19, 0
	s_cbranch_scc1 .LBB6_697
; %bb.695:                              ;   in Loop: Header=BB6_645 Depth=1
	s_mov_b64 s[4:5], 0
	s_mov_b64 s[16:17], s[14:15]
.LBB6_696:                              ;   Parent Loop BB6_645 Depth=1
                                        ; =>  This Inner Loop Header: Depth=2
	global_load_ubyte v2, v3, s[16:17]
	s_add_i32 s19, s19, -1
	s_waitcnt vmcnt(0)
	v_and_b32_e32 v2, 0xffff, v2
	v_lshlrev_b64 v[22:23], s4, v[2:3]
	s_add_u32 s4, s4, 8
	s_addc_u32 s5, s5, 0
	s_add_u32 s16, s16, 1
	s_addc_u32 s17, s17, 0
	s_cmp_lg_u32 s19, 0
	v_or_b32_e32 v20, v22, v20
	v_or_b32_e32 v21, v23, v21
	s_cbranch_scc1 .LBB6_696
.LBB6_697:                              ;   in Loop: Header=BB6_645 Depth=1
	s_mov_b32 s4, 0
	s_branch .LBB6_699
.LBB6_698:                              ;   in Loop: Header=BB6_645 Depth=1
	s_mov_b32 s4, -1
.LBB6_699:                              ;   in Loop: Header=BB6_645 Depth=1
	s_andn2_b32 vcc_lo, exec_lo, s4
	s_cbranch_vccnz .LBB6_701
; %bb.700:                              ;   in Loop: Header=BB6_645 Depth=1
	global_load_dwordx2 v[20:21], v3, s[14:15]
.LBB6_701:                              ;   in Loop: Header=BB6_645 Depth=1
	v_readfirstlane_b32 s4, v29
	v_mov_b32_e32 v26, 0
	v_mov_b32_e32 v27, 0
	v_cmp_eq_u32_e64 s4, s4, v29
	s_and_saveexec_b32 s5, s4
	s_cbranch_execz .LBB6_707
; %bb.702:                              ;   in Loop: Header=BB6_645 Depth=1
	global_load_dwordx2 v[24:25], v3, s[6:7] offset:24 glc dlc
	s_waitcnt vmcnt(0)
	buffer_gl1_inv
	buffer_gl0_inv
	s_clause 0x1
	global_load_dwordx2 v[22:23], v3, s[6:7] offset:40
	global_load_dwordx2 v[26:27], v3, s[6:7]
	s_mov_b32 s14, exec_lo
	s_waitcnt vmcnt(1)
	v_and_b32_e32 v2, v23, v25
	v_and_b32_e32 v22, v22, v24
	v_mul_lo_u32 v2, v2, 24
	v_mul_hi_u32 v23, v22, 24
	v_mul_lo_u32 v22, v22, 24
	v_add_nc_u32_e32 v2, v23, v2
	s_waitcnt vmcnt(0)
	v_add_co_u32 v22, vcc_lo, v26, v22
	v_add_co_ci_u32_e64 v23, null, v27, v2, vcc_lo
	global_load_dwordx2 v[22:23], v[22:23], off glc dlc
	s_waitcnt vmcnt(0)
	global_atomic_cmpswap_x2 v[26:27], v3, v[22:25], s[6:7] offset:24 glc
	s_waitcnt vmcnt(0)
	buffer_gl1_inv
	buffer_gl0_inv
	v_cmpx_ne_u64_e64 v[26:27], v[24:25]
	s_cbranch_execz .LBB6_706
; %bb.703:                              ;   in Loop: Header=BB6_645 Depth=1
	s_mov_b32 s15, 0
.LBB6_704:                              ;   Parent Loop BB6_645 Depth=1
                                        ; =>  This Inner Loop Header: Depth=2
	s_sleep 1
	s_clause 0x1
	global_load_dwordx2 v[22:23], v3, s[6:7] offset:40
	global_load_dwordx2 v[30:31], v3, s[6:7]
	v_mov_b32_e32 v24, v26
	v_mov_b32_e32 v25, v27
	s_waitcnt vmcnt(1)
	v_and_b32_e32 v2, v22, v24
	v_and_b32_e32 v22, v23, v25
	s_waitcnt vmcnt(0)
	v_mad_u64_u32 v[26:27], null, v2, 24, v[30:31]
	v_mov_b32_e32 v2, v27
	v_mad_u64_u32 v[22:23], null, v22, 24, v[2:3]
	v_mov_b32_e32 v27, v22
	global_load_dwordx2 v[22:23], v[26:27], off glc dlc
	s_waitcnt vmcnt(0)
	global_atomic_cmpswap_x2 v[26:27], v3, v[22:25], s[6:7] offset:24 glc
	s_waitcnt vmcnt(0)
	buffer_gl1_inv
	buffer_gl0_inv
	v_cmp_eq_u64_e32 vcc_lo, v[26:27], v[24:25]
	s_or_b32 s15, vcc_lo, s15
	s_andn2_b32 exec_lo, exec_lo, s15
	s_cbranch_execnz .LBB6_704
; %bb.705:                              ;   in Loop: Header=BB6_645 Depth=1
	s_or_b32 exec_lo, exec_lo, s15
.LBB6_706:                              ;   in Loop: Header=BB6_645 Depth=1
	s_or_b32 exec_lo, exec_lo, s14
.LBB6_707:                              ;   in Loop: Header=BB6_645 Depth=1
	s_or_b32 exec_lo, exec_lo, s5
	s_clause 0x1
	global_load_dwordx2 v[30:31], v3, s[6:7] offset:40
	global_load_dwordx4 v[22:25], v3, s[6:7]
	v_readfirstlane_b32 s15, v27
	v_readfirstlane_b32 s14, v26
	s_mov_b32 s5, exec_lo
	s_waitcnt vmcnt(1)
	v_readfirstlane_b32 s16, v30
	v_readfirstlane_b32 s17, v31
	s_and_b64 s[16:17], s[16:17], s[14:15]
	s_mul_i32 s18, s17, 24
	s_mul_hi_u32 s19, s16, 24
	s_mul_i32 s20, s16, 24
	s_add_i32 s19, s19, s18
	s_waitcnt vmcnt(0)
	v_add_co_u32 v26, vcc_lo, v22, s20
	v_add_co_ci_u32_e64 v27, null, s19, v23, vcc_lo
	s_and_saveexec_b32 s18, s4
	s_cbranch_execz .LBB6_709
; %bb.708:                              ;   in Loop: Header=BB6_645 Depth=1
	v_mov_b32_e32 v2, s5
	global_store_dwordx4 v[26:27], v[2:5], off offset:8
.LBB6_709:                              ;   in Loop: Header=BB6_645 Depth=1
	s_or_b32 exec_lo, exec_lo, s18
	v_cmp_gt_u64_e64 s5, s[10:11], 56
	s_lshl_b64 s[16:17], s[16:17], 12
	v_and_b32_e32 v2, 0xffffff1f, v6
	v_add_co_u32 v24, vcc_lo, v24, s16
	v_add_co_ci_u32_e64 v25, null, s17, v25, vcc_lo
	s_and_b32 s5, s5, exec_lo
	s_cselect_b32 s5, 0, 2
	s_lshl_b32 s18, s12, 2
	v_or_b32_e32 v2, s5, v2
	v_readfirstlane_b32 s16, v24
	v_readfirstlane_b32 s17, v25
	s_add_i32 s18, s18, 28
	v_and_or_b32 v6, 0x1e0, s18, v2
	global_store_dwordx4 v28, v[10:13], s[16:17] offset:16
	global_store_dwordx4 v28, v[14:17], s[16:17] offset:32
	global_store_dwordx4 v28, v[6:9], s[16:17]
	global_store_dwordx4 v28, v[18:21], s[16:17] offset:48
	s_and_saveexec_b32 s5, s4
	s_cbranch_execz .LBB6_717
; %bb.710:                              ;   in Loop: Header=BB6_645 Depth=1
	s_clause 0x1
	global_load_dwordx2 v[14:15], v3, s[6:7] offset:32 glc dlc
	global_load_dwordx2 v[6:7], v3, s[6:7] offset:40
	v_mov_b32_e32 v12, s14
	v_mov_b32_e32 v13, s15
	s_waitcnt vmcnt(0)
	v_readfirstlane_b32 s16, v6
	v_readfirstlane_b32 s17, v7
	s_and_b64 s[16:17], s[16:17], s[14:15]
	s_mul_i32 s17, s17, 24
	s_mul_hi_u32 s18, s16, 24
	s_mul_i32 s16, s16, 24
	s_add_i32 s18, s18, s17
	v_add_co_u32 v10, vcc_lo, v22, s16
	v_add_co_ci_u32_e64 v11, null, s18, v23, vcc_lo
	s_mov_b32 s16, exec_lo
	global_store_dwordx2 v[10:11], v[14:15], off
	s_waitcnt_vscnt null, 0x0
	global_atomic_cmpswap_x2 v[8:9], v3, v[12:15], s[6:7] offset:32 glc
	s_waitcnt vmcnt(0)
	v_cmpx_ne_u64_e64 v[8:9], v[14:15]
	s_cbranch_execz .LBB6_713
; %bb.711:                              ;   in Loop: Header=BB6_645 Depth=1
	s_mov_b32 s17, 0
.LBB6_712:                              ;   Parent Loop BB6_645 Depth=1
                                        ; =>  This Inner Loop Header: Depth=2
	v_mov_b32_e32 v6, s14
	v_mov_b32_e32 v7, s15
	s_sleep 1
	global_store_dwordx2 v[10:11], v[8:9], off
	s_waitcnt_vscnt null, 0x0
	global_atomic_cmpswap_x2 v[6:7], v3, v[6:9], s[6:7] offset:32 glc
	s_waitcnt vmcnt(0)
	v_cmp_eq_u64_e32 vcc_lo, v[6:7], v[8:9]
	v_mov_b32_e32 v9, v7
	v_mov_b32_e32 v8, v6
	s_or_b32 s17, vcc_lo, s17
	s_andn2_b32 exec_lo, exec_lo, s17
	s_cbranch_execnz .LBB6_712
.LBB6_713:                              ;   in Loop: Header=BB6_645 Depth=1
	s_or_b32 exec_lo, exec_lo, s16
	global_load_dwordx2 v[6:7], v3, s[6:7] offset:16
	s_mov_b32 s17, exec_lo
	s_mov_b32 s16, exec_lo
	v_mbcnt_lo_u32_b32 v2, s17, 0
	v_cmpx_eq_u32_e32 0, v2
	s_cbranch_execz .LBB6_715
; %bb.714:                              ;   in Loop: Header=BB6_645 Depth=1
	s_bcnt1_i32_b32 s17, s17
	v_mov_b32_e32 v2, s17
	s_waitcnt vmcnt(0)
	global_atomic_add_x2 v[6:7], v[2:3], off offset:8
.LBB6_715:                              ;   in Loop: Header=BB6_645 Depth=1
	s_or_b32 exec_lo, exec_lo, s16
	s_waitcnt vmcnt(0)
	global_load_dwordx2 v[8:9], v[6:7], off offset:16
	s_waitcnt vmcnt(0)
	v_cmp_eq_u64_e32 vcc_lo, 0, v[8:9]
	s_cbranch_vccnz .LBB6_717
; %bb.716:                              ;   in Loop: Header=BB6_645 Depth=1
	global_load_dword v2, v[6:7], off offset:24
	s_waitcnt vmcnt(0)
	v_readfirstlane_b32 s16, v2
	s_waitcnt_vscnt null, 0x0
	global_store_dwordx2 v[8:9], v[2:3], off
	s_and_b32 m0, s16, 0x7fffff
	s_sendmsg sendmsg(MSG_INTERRUPT)
.LBB6_717:                              ;   in Loop: Header=BB6_645 Depth=1
	s_or_b32 exec_lo, exec_lo, s5
	v_add_co_u32 v6, vcc_lo, v24, v28
	v_add_co_ci_u32_e64 v7, null, 0, v25, vcc_lo
	s_branch .LBB6_721
.LBB6_718:                              ;   in Loop: Header=BB6_721 Depth=2
	s_or_b32 exec_lo, exec_lo, s5
	v_readfirstlane_b32 s5, v2
	s_cmp_eq_u32 s5, 0
	s_cbranch_scc1 .LBB6_720
; %bb.719:                              ;   in Loop: Header=BB6_721 Depth=2
	s_sleep 1
	s_cbranch_execnz .LBB6_721
	s_branch .LBB6_723
.LBB6_720:                              ;   in Loop: Header=BB6_645 Depth=1
	s_branch .LBB6_723
.LBB6_721:                              ;   Parent Loop BB6_645 Depth=1
                                        ; =>  This Inner Loop Header: Depth=2
	v_mov_b32_e32 v2, 1
	s_and_saveexec_b32 s5, s4
	s_cbranch_execz .LBB6_718
; %bb.722:                              ;   in Loop: Header=BB6_721 Depth=2
	global_load_dword v2, v[26:27], off offset:20 glc dlc
	s_waitcnt vmcnt(0)
	buffer_gl1_inv
	buffer_gl0_inv
	v_and_b32_e32 v2, 1, v2
	s_branch .LBB6_718
.LBB6_723:                              ;   in Loop: Header=BB6_645 Depth=1
	global_load_dwordx4 v[6:9], v[6:7], off
	s_and_saveexec_b32 s16, s4
	s_cbranch_execz .LBB6_644
; %bb.724:                              ;   in Loop: Header=BB6_645 Depth=1
	s_clause 0x2
	global_load_dwordx2 v[8:9], v3, s[6:7] offset:40
	global_load_dwordx2 v[16:17], v3, s[6:7] offset:24 glc dlc
	global_load_dwordx2 v[10:11], v3, s[6:7]
	s_waitcnt vmcnt(2)
	v_readfirstlane_b32 s18, v8
	v_readfirstlane_b32 s19, v9
	s_add_u32 s17, s18, 1
	s_addc_u32 s20, s19, 0
	s_add_u32 s4, s17, s14
	s_addc_u32 s5, s20, s15
	s_cmp_eq_u64 s[4:5], 0
	s_cselect_b32 s5, s20, s5
	s_cselect_b32 s4, s17, s4
	v_mov_b32_e32 v15, s5
	s_and_b64 s[14:15], s[4:5], s[18:19]
	v_mov_b32_e32 v14, s4
	s_mul_i32 s15, s15, 24
	s_mul_hi_u32 s17, s14, 24
	s_mul_i32 s14, s14, 24
	s_add_i32 s17, s17, s15
	s_waitcnt vmcnt(0)
	v_add_co_u32 v12, vcc_lo, v10, s14
	v_add_co_ci_u32_e64 v13, null, s17, v11, vcc_lo
	global_store_dwordx2 v[12:13], v[16:17], off
	s_waitcnt_vscnt null, 0x0
	global_atomic_cmpswap_x2 v[10:11], v3, v[14:17], s[6:7] offset:24 glc
	s_waitcnt vmcnt(0)
	v_cmp_ne_u64_e32 vcc_lo, v[10:11], v[16:17]
	s_and_b32 exec_lo, exec_lo, vcc_lo
	s_cbranch_execz .LBB6_644
; %bb.725:                              ;   in Loop: Header=BB6_645 Depth=1
	s_mov_b32 s14, 0
.LBB6_726:                              ;   Parent Loop BB6_645 Depth=1
                                        ; =>  This Inner Loop Header: Depth=2
	v_mov_b32_e32 v8, s4
	v_mov_b32_e32 v9, s5
	s_sleep 1
	global_store_dwordx2 v[12:13], v[10:11], off
	s_waitcnt_vscnt null, 0x0
	global_atomic_cmpswap_x2 v[8:9], v3, v[8:11], s[6:7] offset:24 glc
	s_waitcnt vmcnt(0)
	v_cmp_eq_u64_e32 vcc_lo, v[8:9], v[10:11]
	v_mov_b32_e32 v11, v9
	v_mov_b32_e32 v10, v8
	s_or_b32 s14, vcc_lo, s14
	s_andn2_b32 exec_lo, exec_lo, s14
	s_cbranch_execnz .LBB6_726
	s_branch .LBB6_644
.LBB6_727:
	s_mov_b32 s4, 0
	s_branch .LBB6_729
.LBB6_728:
	s_mov_b32 s4, -1
.LBB6_729:
	s_and_b32 vcc_lo, exec_lo, s4
	s_cbranch_vccz .LBB6_757
; %bb.730:
	v_readfirstlane_b32 s4, v29
	s_waitcnt vmcnt(0)
	v_mov_b32_e32 v8, 0
	v_mov_b32_e32 v9, 0
	v_cmp_eq_u32_e64 s4, s4, v29
	s_and_saveexec_b32 s5, s4
	s_cbranch_execz .LBB6_736
; %bb.731:
	v_mov_b32_e32 v2, 0
	s_mov_b32 s8, exec_lo
	global_load_dwordx2 v[5:6], v2, s[6:7] offset:24 glc dlc
	s_waitcnt vmcnt(0)
	buffer_gl1_inv
	buffer_gl0_inv
	s_clause 0x1
	global_load_dwordx2 v[3:4], v2, s[6:7] offset:40
	global_load_dwordx2 v[7:8], v2, s[6:7]
	s_waitcnt vmcnt(1)
	v_and_b32_e32 v4, v4, v6
	v_and_b32_e32 v3, v3, v5
	v_mul_lo_u32 v4, v4, 24
	v_mul_hi_u32 v9, v3, 24
	v_mul_lo_u32 v3, v3, 24
	v_add_nc_u32_e32 v4, v9, v4
	s_waitcnt vmcnt(0)
	v_add_co_u32 v3, vcc_lo, v7, v3
	v_add_co_ci_u32_e64 v4, null, v8, v4, vcc_lo
	global_load_dwordx2 v[3:4], v[3:4], off glc dlc
	s_waitcnt vmcnt(0)
	global_atomic_cmpswap_x2 v[8:9], v2, v[3:6], s[6:7] offset:24 glc
	s_waitcnt vmcnt(0)
	buffer_gl1_inv
	buffer_gl0_inv
	v_cmpx_ne_u64_e64 v[8:9], v[5:6]
	s_cbranch_execz .LBB6_735
; %bb.732:
	s_mov_b32 s9, 0
.LBB6_733:                              ; =>This Inner Loop Header: Depth=1
	s_sleep 1
	s_clause 0x1
	global_load_dwordx2 v[3:4], v2, s[6:7] offset:40
	global_load_dwordx2 v[10:11], v2, s[6:7]
	v_mov_b32_e32 v5, v8
	v_mov_b32_e32 v6, v9
	s_waitcnt vmcnt(1)
	v_and_b32_e32 v3, v3, v5
	v_and_b32_e32 v4, v4, v6
	s_waitcnt vmcnt(0)
	v_mad_u64_u32 v[7:8], null, v3, 24, v[10:11]
	v_mov_b32_e32 v3, v8
	v_mad_u64_u32 v[3:4], null, v4, 24, v[3:4]
	v_mov_b32_e32 v8, v3
	global_load_dwordx2 v[3:4], v[7:8], off glc dlc
	s_waitcnt vmcnt(0)
	global_atomic_cmpswap_x2 v[8:9], v2, v[3:6], s[6:7] offset:24 glc
	s_waitcnt vmcnt(0)
	buffer_gl1_inv
	buffer_gl0_inv
	v_cmp_eq_u64_e32 vcc_lo, v[8:9], v[5:6]
	s_or_b32 s9, vcc_lo, s9
	s_andn2_b32 exec_lo, exec_lo, s9
	s_cbranch_execnz .LBB6_733
; %bb.734:
	s_or_b32 exec_lo, exec_lo, s9
	s_mov_b32 s43, 0
.LBB6_735:
	s_or_b32 exec_lo, exec_lo, s8
.LBB6_736:
	s_or_b32 exec_lo, exec_lo, s5
	v_mov_b32_e32 v2, 0
	v_readfirstlane_b32 s9, v9
	v_readfirstlane_b32 s8, v8
	s_mov_b32 s5, exec_lo
	s_clause 0x1
	global_load_dwordx2 v[10:11], v2, s[6:7] offset:40
	global_load_dwordx4 v[4:7], v2, s[6:7]
	s_waitcnt vmcnt(1)
	v_readfirstlane_b32 s10, v10
	v_readfirstlane_b32 s11, v11
	s_and_b64 s[10:11], s[10:11], s[8:9]
	s_mul_i32 s12, s11, 24
	s_mul_hi_u32 s13, s10, 24
	s_mul_i32 s14, s10, 24
	s_add_i32 s13, s13, s12
	s_waitcnt vmcnt(0)
	v_add_co_u32 v8, vcc_lo, v4, s14
	v_add_co_ci_u32_e64 v9, null, s13, v5, vcc_lo
	s_and_saveexec_b32 s12, s4
	s_cbranch_execz .LBB6_738
; %bb.737:
	v_mov_b32_e32 v10, s5
	v_mov_b32_e32 v11, v2
	v_mov_b32_e32 v12, 2
	v_mov_b32_e32 v13, 1
	global_store_dwordx4 v[8:9], v[10:13], off offset:8
.LBB6_738:
	s_or_b32 exec_lo, exec_lo, s12
	s_lshl_b64 s[10:11], s[10:11], 12
	s_mov_b32 s12, 0
	v_add_co_u32 v6, vcc_lo, v6, s10
	v_add_co_ci_u32_e64 v7, null, s11, v7, vcc_lo
	s_mov_b32 s13, s12
	s_mov_b32 s14, s12
	;; [unrolled: 1-line block ×3, first 2 shown]
	v_and_or_b32 v0, 0xffffff1d, v0, 34
	v_mov_b32_e32 v3, v2
	v_readfirstlane_b32 s10, v6
	v_readfirstlane_b32 s11, v7
	v_mov_b32_e32 v10, s12
	v_mov_b32_e32 v11, s13
	;; [unrolled: 1-line block ×4, first 2 shown]
	global_store_dwordx4 v28, v[0:3], s[10:11]
	global_store_dwordx4 v28, v[10:13], s[10:11] offset:16
	global_store_dwordx4 v28, v[10:13], s[10:11] offset:32
	;; [unrolled: 1-line block ×3, first 2 shown]
	s_and_saveexec_b32 s5, s4
	s_cbranch_execz .LBB6_746
; %bb.739:
	v_mov_b32_e32 v6, 0
	v_mov_b32_e32 v10, s8
	;; [unrolled: 1-line block ×3, first 2 shown]
	s_clause 0x1
	global_load_dwordx2 v[12:13], v6, s[6:7] offset:32 glc dlc
	global_load_dwordx2 v[0:1], v6, s[6:7] offset:40
	s_waitcnt vmcnt(0)
	v_readfirstlane_b32 s10, v0
	v_readfirstlane_b32 s11, v1
	s_and_b64 s[10:11], s[10:11], s[8:9]
	s_mul_i32 s11, s11, 24
	s_mul_hi_u32 s12, s10, 24
	s_mul_i32 s10, s10, 24
	s_add_i32 s12, s12, s11
	v_add_co_u32 v4, vcc_lo, v4, s10
	v_add_co_ci_u32_e64 v5, null, s12, v5, vcc_lo
	s_mov_b32 s10, exec_lo
	global_store_dwordx2 v[4:5], v[12:13], off
	s_waitcnt_vscnt null, 0x0
	global_atomic_cmpswap_x2 v[2:3], v6, v[10:13], s[6:7] offset:32 glc
	s_waitcnt vmcnt(0)
	v_cmpx_ne_u64_e64 v[2:3], v[12:13]
	s_cbranch_execz .LBB6_742
; %bb.740:
	s_mov_b32 s11, 0
.LBB6_741:                              ; =>This Inner Loop Header: Depth=1
	v_mov_b32_e32 v0, s8
	v_mov_b32_e32 v1, s9
	s_sleep 1
	global_store_dwordx2 v[4:5], v[2:3], off
	s_waitcnt_vscnt null, 0x0
	global_atomic_cmpswap_x2 v[0:1], v6, v[0:3], s[6:7] offset:32 glc
	s_waitcnt vmcnt(0)
	v_cmp_eq_u64_e32 vcc_lo, v[0:1], v[2:3]
	v_mov_b32_e32 v3, v1
	v_mov_b32_e32 v2, v0
	s_or_b32 s11, vcc_lo, s11
	s_andn2_b32 exec_lo, exec_lo, s11
	s_cbranch_execnz .LBB6_741
.LBB6_742:
	s_or_b32 exec_lo, exec_lo, s10
	v_mov_b32_e32 v3, 0
	s_mov_b32 s11, exec_lo
	s_mov_b32 s10, exec_lo
	v_mbcnt_lo_u32_b32 v2, s11, 0
	global_load_dwordx2 v[0:1], v3, s[6:7] offset:16
	v_cmpx_eq_u32_e32 0, v2
	s_cbranch_execz .LBB6_744
; %bb.743:
	s_bcnt1_i32_b32 s11, s11
	v_mov_b32_e32 v2, s11
	s_waitcnt vmcnt(0)
	global_atomic_add_x2 v[0:1], v[2:3], off offset:8
.LBB6_744:
	s_or_b32 exec_lo, exec_lo, s10
	s_waitcnt vmcnt(0)
	global_load_dwordx2 v[2:3], v[0:1], off offset:16
	s_mov_b32 s43, 0
	s_waitcnt vmcnt(0)
	v_cmp_eq_u64_e32 vcc_lo, 0, v[2:3]
	s_cbranch_vccnz .LBB6_746
; %bb.745:
	global_load_dword v0, v[0:1], off offset:24
	v_mov_b32_e32 v1, 0
	s_waitcnt vmcnt(0)
	v_readfirstlane_b32 s10, v0
	s_waitcnt_vscnt null, 0x0
	global_store_dwordx2 v[2:3], v[0:1], off
	s_and_b32 m0, s10, 0x7fffff
	s_sendmsg sendmsg(MSG_INTERRUPT)
.LBB6_746:
	s_or_b32 exec_lo, exec_lo, s5
	s_branch .LBB6_750
.LBB6_747:                              ;   in Loop: Header=BB6_750 Depth=1
	s_or_b32 exec_lo, exec_lo, s5
	v_readfirstlane_b32 s5, v0
	s_cmp_eq_u32 s5, 0
	s_cbranch_scc1 .LBB6_749
; %bb.748:                              ;   in Loop: Header=BB6_750 Depth=1
	s_sleep 1
	s_cbranch_execnz .LBB6_750
	s_branch .LBB6_752
.LBB6_749:
	s_branch .LBB6_752
.LBB6_750:                              ; =>This Inner Loop Header: Depth=1
	v_mov_b32_e32 v0, 1
	s_and_saveexec_b32 s5, s4
	s_cbranch_execz .LBB6_747
; %bb.751:                              ;   in Loop: Header=BB6_750 Depth=1
	global_load_dword v0, v[8:9], off offset:20 glc dlc
	s_waitcnt vmcnt(0)
	buffer_gl1_inv
	buffer_gl0_inv
	v_and_b32_e32 v0, 1, v0
	s_branch .LBB6_747
.LBB6_752:
	s_and_saveexec_b32 s10, s4
	s_cbranch_execz .LBB6_756
; %bb.753:
	v_mov_b32_e32 v6, 0
	s_clause 0x2
	global_load_dwordx2 v[0:1], v6, s[6:7] offset:40
	global_load_dwordx2 v[9:10], v6, s[6:7] offset:24 glc dlc
	global_load_dwordx2 v[2:3], v6, s[6:7]
	s_waitcnt vmcnt(2)
	v_readfirstlane_b32 s12, v0
	v_readfirstlane_b32 s13, v1
	s_add_u32 s11, s12, 1
	s_addc_u32 s14, s13, 0
	s_add_u32 s4, s11, s8
	s_addc_u32 s5, s14, s9
	s_cmp_eq_u64 s[4:5], 0
	s_cselect_b32 s5, s14, s5
	s_cselect_b32 s4, s11, s4
	v_mov_b32_e32 v8, s5
	s_and_b64 s[8:9], s[4:5], s[12:13]
	v_mov_b32_e32 v7, s4
	s_mul_i32 s9, s9, 24
	s_mul_hi_u32 s11, s8, 24
	s_mul_i32 s8, s8, 24
	s_add_i32 s11, s11, s9
	s_waitcnt vmcnt(0)
	v_add_co_u32 v4, vcc_lo, v2, s8
	v_add_co_ci_u32_e64 v5, null, s11, v3, vcc_lo
	global_store_dwordx2 v[4:5], v[9:10], off
	s_waitcnt_vscnt null, 0x0
	global_atomic_cmpswap_x2 v[2:3], v6, v[7:10], s[6:7] offset:24 glc
	s_waitcnt vmcnt(0)
	v_cmp_ne_u64_e32 vcc_lo, v[2:3], v[9:10]
	s_and_b32 exec_lo, exec_lo, vcc_lo
	s_cbranch_execz .LBB6_756
; %bb.754:
	s_mov_b32 s8, 0
.LBB6_755:                              ; =>This Inner Loop Header: Depth=1
	v_mov_b32_e32 v0, s4
	v_mov_b32_e32 v1, s5
	s_sleep 1
	global_store_dwordx2 v[4:5], v[2:3], off
	s_waitcnt_vscnt null, 0x0
	global_atomic_cmpswap_x2 v[0:1], v6, v[0:3], s[6:7] offset:24 glc
	s_waitcnt vmcnt(0)
	v_cmp_eq_u64_e32 vcc_lo, v[0:1], v[2:3]
	v_mov_b32_e32 v3, v1
	v_mov_b32_e32 v2, v0
	s_or_b32 s8, vcc_lo, s8
	s_andn2_b32 exec_lo, exec_lo, s8
	s_cbranch_execnz .LBB6_755
.LBB6_756:
	s_or_b32 exec_lo, exec_lo, s10
.LBB6_757:
	s_getpc_b64 s[4:5]
	s_add_u32 s4, s4, .str.29@rel32@lo+4
	s_addc_u32 s5, s5, .str.29@rel32@hi+12
	s_getpc_b64 s[6:7]
	s_add_u32 s6, s6, .str.19@rel32@lo+4
	s_addc_u32 s7, s7, .str.19@rel32@hi+12
	s_getpc_b64 s[8:9]
	s_add_u32 s8, s8, __PRETTY_FUNCTION__._ZN7VecsMemIjLi8192EE5fetchEi@rel32@lo+4
	s_addc_u32 s9, s9, __PRETTY_FUNCTION__._ZN7VecsMemIjLi8192EE5fetchEi@rel32@hi+12
	s_waitcnt vmcnt(0)
	v_mov_b32_e32 v0, s4
	v_mov_b32_e32 v1, s5
	;; [unrolled: 1-line block ×7, first 2 shown]
	s_getpc_b64 s[10:11]
	s_add_u32 s10, s10, __assert_fail@rel32@lo+4
	s_addc_u32 s11, s11, __assert_fail@rel32@hi+12
	s_mov_b64 s[8:9], s[52:53]
	s_swappc_b64 s[30:31], s[10:11]
	s_or_b32 s4, s21, exec_lo
.LBB6_758:
	s_or_b32 exec_lo, exec_lo, s27
	s_andn2_b32 s5, s21, exec_lo
	s_and_b32 s4, s4, exec_lo
	s_or_b32 s27, s5, s4
	s_orn2_b32 s4, s56, exec_lo
.LBB6_759:
	s_or_b32 exec_lo, exec_lo, s28
	s_mov_b32 s5, 0
                                        ; implicit-def: $vgpr41
	s_and_saveexec_b32 s56, s4
	s_cbranch_execz .LBB6_1815
; %bb.760:
	v_mov_b32_e32 v0, 0
	s_mov_b32 s5, exec_lo
	buffer_store_dword v66, off, s[0:3], s33 offset:148
	buffer_store_dword v65, off, s[0:3], s33 offset:144
	v_cmpx_lt_i32_e32 0, v56
	s_cbranch_execz .LBB6_768
; %bb.761:
	v_mov_b32_e32 v2, v54
	v_mov_b32_e32 v1, 0
	;; [unrolled: 1-line block ×4, first 2 shown]
	s_mov_b32 s6, 0
	s_mov_b32 s7, 0
	s_inst_prefetch 0x1
	s_branch .LBB6_763
.LBB6_762:                              ;   in Loop: Header=BB6_763 Depth=1
	s_or_b32 exec_lo, exec_lo, s4
	flat_load_dword v4, v[52:53] offset:4
	s_add_i32 s7, s7, 1
	v_add_co_u32 v2, s4, v2, 4
	v_add_co_ci_u32_e64 v3, null, 0, v3, s4
	s_waitcnt vmcnt(0) lgkmcnt(0)
	v_cmp_ge_i32_e32 vcc_lo, s7, v4
	s_or_b32 s6, vcc_lo, s6
	s_andn2_b32 exec_lo, exec_lo, s6
	s_cbranch_execz .LBB6_767
.LBB6_763:                              ; =>This Inner Loop Header: Depth=1
	flat_load_dword v4, v[2:3]
	s_mov_b32 s4, exec_lo
	s_waitcnt vmcnt(0) lgkmcnt(0)
	v_cmpx_gt_i32_e32 0, v4
	s_xor_b32 s4, exec_lo, s4
	s_cbranch_execz .LBB6_765
; %bb.764:                              ;   in Loop: Header=BB6_763 Depth=1
	v_and_b32_e32 v4, 0x7fffffff, v4
	flat_store_dword v[2:3], v4
                                        ; implicit-def: $vgpr4
.LBB6_765:                              ;   in Loop: Header=BB6_763 Depth=1
	s_andn2_saveexec_b32 s4, s4
	s_cbranch_execz .LBB6_762
; %bb.766:                              ;   in Loop: Header=BB6_763 Depth=1
	v_ashrrev_i32_e32 v1, 31, v0
	v_lshlrev_b64 v[5:6], 2, v[0:1]
	v_add_nc_u32_e32 v1, 1, v0
	v_mov_b32_e32 v0, v1
	v_add_co_u32 v5, vcc_lo, v65, v5
	v_add_co_ci_u32_e64 v6, null, v66, v6, vcc_lo
	flat_store_dword v[5:6], v4
	s_branch .LBB6_762
.LBB6_767:
	s_inst_prefetch 0x2
	s_or_b32 exec_lo, exec_lo, s6
	buffer_store_dword v1, off, s[0:3], s33 offset:140
.LBB6_768:
	s_or_b32 exec_lo, exec_lo, s5
	s_mov_b32 s28, s27
	s_mov_b32 s4, exec_lo
	v_cmpx_ne_u32_e64 v64, v0
	s_xor_b32 s57, exec_lo, s4
	s_cbranch_execz .LBB6_770
; %bb.769:
	s_getpc_b64 s[4:5]
	s_add_u32 s4, s4, .str.40@rel32@lo+4
	s_addc_u32 s5, s5, .str.40@rel32@hi+12
	s_getpc_b64 s[6:7]
	s_add_u32 s6, s6, .str.31@rel32@lo+4
	s_addc_u32 s7, s7, .str.31@rel32@hi+12
	s_getpc_b64 s[8:9]
	s_add_u32 s8, s8, __PRETTY_FUNCTION__._ZN3sop17sopDivideInternalEPNS_3SopES1_S1_S1_P7VecsMemIjLi8192EE@rel32@lo+4
	s_addc_u32 s9, s9, __PRETTY_FUNCTION__._ZN3sop17sopDivideInternalEPNS_3SopES1_S1_S1_P7VecsMemIjLi8192EE@rel32@hi+12
	v_mov_b32_e32 v0, s4
	v_mov_b32_e32 v1, s5
	;; [unrolled: 1-line block ×7, first 2 shown]
	s_getpc_b64 s[10:11]
	s_add_u32 s10, s10, __assert_fail@rel32@lo+4
	s_addc_u32 s11, s11, __assert_fail@rel32@hi+12
	s_mov_b64 s[8:9], s[52:53]
	s_swappc_b64 s[30:31], s[10:11]
	s_or_b32 s28, s27, exec_lo
                                        ; implicit-def: $vgpr67_vgpr68
                                        ; implicit-def: $vgpr70
                                        ; implicit-def: $vgpr54_vgpr55
                                        ; implicit-def: $vgpr44_vgpr45
                                        ; implicit-def: $vgpr42_vgpr43
                                        ; implicit-def: $vgpr47
                                        ; implicit-def: $vgpr52_vgpr53
.LBB6_770:
	s_or_saveexec_b32 s57, s57
	s_mov_b32 s4, 0
                                        ; implicit-def: $vgpr41
	s_xor_b32 exec_lo, exec_lo, s57
	s_cbranch_execz .LBB6_1814
; %bb.771:
	s_mov_b32 s5, s28
	s_mov_b32 s4, exec_lo
	v_cmpx_gt_i32_e32 1, v69
	s_xor_b32 s58, exec_lo, s4
	s_cbranch_execz .LBB6_773
; %bb.772:
	s_getpc_b64 s[4:5]
	s_add_u32 s4, s4, .str.33@rel32@lo+4
	s_addc_u32 s5, s5, .str.33@rel32@hi+12
	s_getpc_b64 s[6:7]
	s_add_u32 s6, s6, .str.31@rel32@lo+4
	s_addc_u32 s7, s7, .str.31@rel32@hi+12
	s_getpc_b64 s[8:9]
	s_add_u32 s8, s8, __PRETTY_FUNCTION__._ZN3sop18sopCommonCubeCoverEPNS_3SopES1_P7VecsMemIjLi8192EE@rel32@lo+4
	s_addc_u32 s9, s9, __PRETTY_FUNCTION__._ZN3sop18sopCommonCubeCoverEPNS_3SopES1_P7VecsMemIjLi8192EE@rel32@hi+12
	v_mov_b32_e32 v0, s4
	v_mov_b32_e32 v1, s5
	;; [unrolled: 1-line block ×7, first 2 shown]
	s_getpc_b64 s[10:11]
	s_add_u32 s10, s10, __assert_fail@rel32@lo+4
	s_addc_u32 s11, s11, __assert_fail@rel32@hi+12
	s_mov_b64 s[8:9], s[52:53]
	s_swappc_b64 s[30:31], s[10:11]
	s_or_b32 s5, s28, exec_lo
                                        ; implicit-def: $vgpr67_vgpr68
                                        ; implicit-def: $vgpr70
                                        ; implicit-def: $vgpr54_vgpr55
                                        ; implicit-def: $vgpr44_vgpr45
                                        ; implicit-def: $vgpr42_vgpr43
                                        ; implicit-def: $vgpr47
                                        ; implicit-def: $vgpr52_vgpr53
.LBB6_773:
	s_or_saveexec_b32 s4, s58
	s_mov_b32 s6, 0
                                        ; implicit-def: $vgpr41
	s_xor_b32 exec_lo, exec_lo, s4
	s_cbranch_execz .LBB6_1813
; %bb.774:
	v_mov_b32_e32 v0, v67
	v_mov_b32_e32 v2, -1
	v_mov_b32_e32 v1, v68
	v_mov_b32_e32 v3, v69
	v_writelane_b32 v59, s4, 1
.LBB6_775:                              ; =>This Inner Loop Header: Depth=1
	flat_load_dword v4, v[0:1]
	v_add_nc_u32_e32 v3, -1, v3
	v_add_co_u32 v0, vcc_lo, v0, 4
	v_add_co_ci_u32_e64 v1, null, 0, v1, vcc_lo
	v_cmp_eq_u32_e64 s4, 0, v3
	s_or_b32 s6, s4, s6
	s_waitcnt vmcnt(0) lgkmcnt(0)
	v_and_b32_e32 v2, v4, v2
	s_andn2_b32 exec_lo, exec_lo, s6
	s_cbranch_execnz .LBB6_775
; %bb.776:
	s_or_b32 exec_lo, exec_lo, s6
	v_cmp_ne_u32_e32 vcc_lo, 0, v2
	s_mov_b32 s36, 0
	s_mov_b32 s34, s5
                                        ; implicit-def: $vgpr41
	s_and_saveexec_b32 s4, vcc_lo
	v_writelane_b32 v59, s26, 8
	s_xor_b32 s4, exec_lo, s4
	v_writelane_b32 v59, s29, 6
	v_writelane_b32 v59, s23, 4
	;; [unrolled: 1-line block ×12, first 2 shown]
	s_cbranch_execz .LBB6_1599
; %bb.777:
	flat_load_dword v0, v[44:45]
	v_writelane_b32 v59, s4, 19
	s_mov_b32 s21, 0
	s_mov_b32 s4, exec_lo
                                        ; implicit-def: $vgpr41
	v_writelane_b32 v59, s47, 18
	v_writelane_b32 v59, s41, 3
	;; [unrolled: 1-line block ×4, first 2 shown]
	s_mov_b32 s22, s5
	v_writelane_b32 v59, s24, 10
	v_writelane_b32 v59, s42, 20
	s_waitcnt vmcnt(0) lgkmcnt(0)
	v_cmpx_gt_i32_e32 0x2000, v0
	s_xor_b32 s4, exec_lo, s4
	s_cbranch_execz .LBB6_1455
; %bb.778:
	v_add_nc_u32_e32 v1, 1, v0
	v_mov_b32_e32 v2, -1
	s_mov_b32 s5, 0
	v_writelane_b32 v59, s4, 21
	flat_store_dword v[44:45], v1
.LBB6_779:                              ; =>This Inner Loop Header: Depth=1
	flat_load_dword v1, v[67:68]
	v_add_nc_u32_e32 v69, -1, v69
	v_add_co_u32 v67, vcc_lo, v67, 4
	v_add_co_ci_u32_e64 v68, null, 0, v68, vcc_lo
	v_cmp_eq_u32_e64 s4, 0, v69
	s_or_b32 s5, s4, s5
	s_waitcnt vmcnt(0) lgkmcnt(0)
	v_and_b32_e32 v2, v1, v2
	s_andn2_b32 exec_lo, exec_lo, s5
	s_cbranch_execnz .LBB6_779
; %bb.780:
	s_or_b32 exec_lo, exec_lo, s5
	v_ashrrev_i32_e32 v1, 31, v0
	v_mov_b32_e32 v3, -1
	v_lshlrev_b64 v[0:1], 2, v[0:1]
	v_add_co_u32 v0, vcc_lo, v44, v0
	v_add_co_ci_u32_e64 v1, null, v45, v1, vcc_lo
	flat_store_dword v[0:1], v2 offset:4
	s_mov_b32 s5, exec_lo
	v_readlane_b32 s4, v59, 20
	s_and_b32 s4, s5, s4
	s_mov_b32 exec_lo, s4
	s_cbranch_execz .LBB6_790
; %bb.781:
	v_mov_b32_e32 v3, -1
	v_mov_b32_e32 v4, -1
	s_mov_b32 s6, 0
	s_mov_b32 s7, 0
	s_inst_prefetch 0x1
	s_branch .LBB6_784
.LBB6_782:                              ;   in Loop: Header=BB6_784 Depth=1
	s_or_b32 exec_lo, exec_lo, s9
	v_cmp_lt_u32_e32 vcc_lo, 1, v5
	v_cmp_lt_i32_e64 s4, v3, v5
	s_and_b32 vcc_lo, vcc_lo, s4
	v_cndmask_b32_e64 v4, v4, s7, vcc_lo
	v_cndmask_b32_e32 v3, v3, v5, vcc_lo
.LBB6_783:                              ;   in Loop: Header=BB6_784 Depth=1
	s_or_b32 exec_lo, exec_lo, s8
	s_add_i32 s7, s7, 1
	v_cmp_eq_u32_e32 vcc_lo, s7, v47
	s_or_b32 s6, vcc_lo, s6
	s_andn2_b32 exec_lo, exec_lo, s6
	s_cbranch_execz .LBB6_789
.LBB6_784:                              ; =>This Loop Header: Depth=1
                                        ;     Child Loop BB6_787 Depth 2
	v_lshrrev_b32_e32 v0, s7, v2
	s_mov_b32 s8, exec_lo
	v_and_b32_e32 v0, 1, v0
	v_cmpx_eq_u32_e32 1, v0
	s_cbranch_execz .LBB6_783
; %bb.785:                              ;   in Loop: Header=BB6_784 Depth=1
	flat_load_dword v6, v[52:53] offset:4
	v_mov_b32_e32 v5, 0
	s_mov_b32 s9, exec_lo
	s_waitcnt vmcnt(0) lgkmcnt(0)
	v_cmpx_lt_i32_e32 0, v6
	s_cbranch_execz .LBB6_782
; %bb.786:                              ;   in Loop: Header=BB6_784 Depth=1
	v_mov_b32_e32 v0, v54
	v_mov_b32_e32 v5, 0
	;; [unrolled: 1-line block ×3, first 2 shown]
	s_mov_b32 s10, 0
.LBB6_787:                              ;   Parent Loop BB6_784 Depth=1
                                        ; =>  This Inner Loop Header: Depth=2
	flat_load_dword v7, v[0:1]
	v_add_nc_u32_e32 v6, -1, v6
	v_add_co_u32 v0, vcc_lo, v0, 4
	v_add_co_ci_u32_e64 v1, null, 0, v1, vcc_lo
	v_cmp_eq_u32_e64 s4, 0, v6
	s_or_b32 s10, s4, s10
	s_waitcnt vmcnt(0) lgkmcnt(0)
	v_bfe_u32 v7, v7, s7, 1
	v_add_nc_u32_e32 v5, v7, v5
	s_andn2_b32 exec_lo, exec_lo, s10
	s_cbranch_execnz .LBB6_787
; %bb.788:                              ;   in Loop: Header=BB6_784 Depth=1
	s_or_b32 exec_lo, exec_lo, s10
	s_branch .LBB6_782
.LBB6_789:
	s_inst_prefetch 0x2
	s_or_b32 exec_lo, exec_lo, s6
	v_cmp_lt_i32_e32 vcc_lo, -1, v3
	v_cndmask_b32_e32 v3, -1, v4, vcc_lo
.LBB6_790:
	s_or_b32 exec_lo, exec_lo, s5
	flat_load_dword v0, v[44:45]
	v_readlane_b32 s22, v59, 0
	s_mov_b32 s21, 0
                                        ; implicit-def: $vgpr41
	s_mov_b32 s4, exec_lo
	s_waitcnt vmcnt(0) lgkmcnt(0)
	v_cmpx_gt_i32_e32 0x2000, v0
	s_xor_b32 s49, exec_lo, s4
	s_cbranch_execz .LBB6_1311
; %bb.791:
	v_ashrrev_i32_e32 v1, 31, v0
	v_lshlrev_b32_e64 v71, v3, 1
	v_mov_b32_e32 v66, 0
	v_mov_b32_e32 v67, 0
	v_readlane_b32 s67, v59, 0
	v_lshlrev_b64 v[1:2], 2, v[0:1]
	v_add_nc_u32_e32 v0, 1, v0
	s_mov_b32 s4, -1
	v_add_co_u32 v64, vcc_lo, v44, v1
	v_add_co_ci_u32_e64 v65, null, v45, v2, vcc_lo
	flat_store_dword v[44:45], v0
	flat_store_dword v[64:65], v71 offset:4
	flat_load_dword v68, v[52:53] offset:4
	v_mov_b32_e32 v0, 0
	buffer_store_dword v0, off, s[0:3], s33 offset:44
	s_waitcnt vmcnt(0) lgkmcnt(0)
	v_cmp_lt_i32_e64 s21, 0, v68
	s_and_saveexec_b32 s22, s21
	s_cbranch_execz .LBB6_938
; %bb.792:
	flat_load_dword v0, v[44:45]
	v_mov_b32_e32 v66, 0
	v_mov_b32_e32 v67, 0
	s_mov_b32 s23, 0
	s_mov_b32 s4, exec_lo
	s_waitcnt vmcnt(0) lgkmcnt(0)
	v_add_nc_u32_e32 v0, v0, v68
	v_cmpx_gt_i32_e32 0x2001, v0
	s_xor_b32 s4, exec_lo, s4
	s_cbranch_execz .LBB6_794
; %bb.793:
	v_ashrrev_i32_e32 v1, 31, v0
	v_mov_b32_e32 v69, 0
	s_mov_b32 s23, exec_lo
	flat_store_dword v[44:45], v0
	v_lshlrev_b64 v[1:2], 2, v[0:1]
	v_lshlrev_b64 v[3:4], 2, v[68:69]
	v_add_co_u32 v1, vcc_lo, v44, v1
	v_add_co_ci_u32_e64 v2, null, v45, v2, vcc_lo
	v_sub_co_u32 v1, vcc_lo, v1, v3
	v_sub_co_ci_u32_e64 v2, null, v2, v4, vcc_lo
	v_add_co_u32 v66, vcc_lo, v1, 4
	v_add_co_ci_u32_e64 v67, null, 0, v2, vcc_lo
.LBB6_794:
	s_or_saveexec_b32 s24, s4
	v_readlane_b32 s4, v59, 0
	s_xor_b32 exec_lo, exec_lo, s24
	s_cbranch_execz .LBB6_937
; %bb.795:
	s_load_dwordx2 s[6:7], s[52:53], 0x50
	v_mbcnt_lo_u32_b32 v29, -1, 0
	v_mov_b32_e32 v6, 0
	v_mov_b32_e32 v7, 0
	v_readfirstlane_b32 s4, v29
	v_cmp_eq_u32_e64 s4, s4, v29
	s_and_saveexec_b32 s5, s4
	s_cbranch_execz .LBB6_801
; %bb.796:
	v_mov_b32_e32 v0, 0
	s_mov_b32 s8, exec_lo
	s_waitcnt lgkmcnt(0)
	global_load_dwordx2 v[3:4], v0, s[6:7] offset:24 glc dlc
	s_waitcnt vmcnt(0)
	buffer_gl1_inv
	buffer_gl0_inv
	s_clause 0x1
	global_load_dwordx2 v[1:2], v0, s[6:7] offset:40
	global_load_dwordx2 v[5:6], v0, s[6:7]
	s_waitcnt vmcnt(1)
	v_and_b32_e32 v2, v2, v4
	v_and_b32_e32 v1, v1, v3
	v_mul_lo_u32 v2, v2, 24
	v_mul_hi_u32 v7, v1, 24
	v_mul_lo_u32 v1, v1, 24
	v_add_nc_u32_e32 v2, v7, v2
	s_waitcnt vmcnt(0)
	v_add_co_u32 v1, vcc_lo, v5, v1
	v_add_co_ci_u32_e64 v2, null, v6, v2, vcc_lo
	global_load_dwordx2 v[1:2], v[1:2], off glc dlc
	s_waitcnt vmcnt(0)
	global_atomic_cmpswap_x2 v[6:7], v0, v[1:4], s[6:7] offset:24 glc
	s_waitcnt vmcnt(0)
	buffer_gl1_inv
	buffer_gl0_inv
	v_cmpx_ne_u64_e64 v[6:7], v[3:4]
	s_cbranch_execz .LBB6_800
; %bb.797:
	s_mov_b32 s9, 0
.LBB6_798:                              ; =>This Inner Loop Header: Depth=1
	s_sleep 1
	s_clause 0x1
	global_load_dwordx2 v[1:2], v0, s[6:7] offset:40
	global_load_dwordx2 v[8:9], v0, s[6:7]
	v_mov_b32_e32 v3, v6
	v_mov_b32_e32 v4, v7
	s_waitcnt vmcnt(1)
	v_and_b32_e32 v1, v1, v3
	v_and_b32_e32 v2, v2, v4
	s_waitcnt vmcnt(0)
	v_mad_u64_u32 v[5:6], null, v1, 24, v[8:9]
	v_mov_b32_e32 v1, v6
	v_mad_u64_u32 v[1:2], null, v2, 24, v[1:2]
	v_mov_b32_e32 v6, v1
	global_load_dwordx2 v[1:2], v[5:6], off glc dlc
	s_waitcnt vmcnt(0)
	global_atomic_cmpswap_x2 v[6:7], v0, v[1:4], s[6:7] offset:24 glc
	s_waitcnt vmcnt(0)
	buffer_gl1_inv
	buffer_gl0_inv
	v_cmp_eq_u64_e32 vcc_lo, v[6:7], v[3:4]
	s_or_b32 s9, vcc_lo, s9
	s_andn2_b32 exec_lo, exec_lo, s9
	s_cbranch_execnz .LBB6_798
; %bb.799:
	s_or_b32 exec_lo, exec_lo, s9
.LBB6_800:
	s_or_b32 exec_lo, exec_lo, s8
.LBB6_801:
	s_or_b32 exec_lo, exec_lo, s5
	v_mov_b32_e32 v5, 0
	v_readfirstlane_b32 s9, v7
	v_readfirstlane_b32 s8, v6
	s_mov_b32 s5, exec_lo
	s_waitcnt lgkmcnt(0)
	s_clause 0x1
	global_load_dwordx2 v[8:9], v5, s[6:7] offset:40
	global_load_dwordx4 v[0:3], v5, s[6:7]
	s_waitcnt vmcnt(1)
	v_readfirstlane_b32 s10, v8
	v_readfirstlane_b32 s11, v9
	s_and_b64 s[10:11], s[10:11], s[8:9]
	s_mul_i32 s12, s11, 24
	s_mul_hi_u32 s13, s10, 24
	s_mul_i32 s14, s10, 24
	s_add_i32 s13, s13, s12
	s_waitcnt vmcnt(0)
	v_add_co_u32 v8, vcc_lo, v0, s14
	v_add_co_ci_u32_e64 v9, null, s13, v1, vcc_lo
	s_and_saveexec_b32 s12, s4
	s_cbranch_execz .LBB6_803
; %bb.802:
	v_mov_b32_e32 v4, s5
	v_mov_b32_e32 v6, 2
	;; [unrolled: 1-line block ×3, first 2 shown]
	global_store_dwordx4 v[8:9], v[4:7], off offset:8
.LBB6_803:
	s_or_b32 exec_lo, exec_lo, s12
	s_lshl_b64 s[10:11], s[10:11], 12
	v_lshlrev_b32_e32 v28, 6, v29
	v_add_co_u32 v2, vcc_lo, v2, s10
	v_add_co_ci_u32_e64 v3, null, s11, v3, vcc_lo
	s_mov_b32 s12, 0
	v_add_co_u32 v10, vcc_lo, v2, v28
	s_mov_b32 s13, s12
	s_mov_b32 s14, s12
	;; [unrolled: 1-line block ×3, first 2 shown]
	v_mov_b32_e32 v4, 33
	v_mov_b32_e32 v6, v5
	;; [unrolled: 1-line block ×3, first 2 shown]
	v_readfirstlane_b32 s10, v2
	v_readfirstlane_b32 s11, v3
	v_mov_b32_e32 v12, s12
	v_add_co_ci_u32_e64 v11, null, 0, v3, vcc_lo
	v_mov_b32_e32 v13, s13
	v_mov_b32_e32 v14, s14
	;; [unrolled: 1-line block ×3, first 2 shown]
	global_store_dwordx4 v28, v[4:7], s[10:11]
	global_store_dwordx4 v28, v[12:15], s[10:11] offset:16
	global_store_dwordx4 v28, v[12:15], s[10:11] offset:32
	;; [unrolled: 1-line block ×3, first 2 shown]
	s_and_saveexec_b32 s5, s4
	s_cbranch_execz .LBB6_811
; %bb.804:
	v_mov_b32_e32 v6, 0
	v_mov_b32_e32 v12, s8
	;; [unrolled: 1-line block ×3, first 2 shown]
	s_mov_b32 s10, exec_lo
	s_clause 0x1
	global_load_dwordx2 v[14:15], v6, s[6:7] offset:32 glc dlc
	global_load_dwordx2 v[2:3], v6, s[6:7] offset:40
	s_waitcnt vmcnt(0)
	v_and_b32_e32 v3, s9, v3
	v_and_b32_e32 v2, s8, v2
	v_mul_lo_u32 v3, v3, 24
	v_mul_hi_u32 v4, v2, 24
	v_mul_lo_u32 v2, v2, 24
	v_add_nc_u32_e32 v3, v4, v3
	v_add_co_u32 v4, vcc_lo, v0, v2
	v_add_co_ci_u32_e64 v5, null, v1, v3, vcc_lo
	global_store_dwordx2 v[4:5], v[14:15], off
	s_waitcnt_vscnt null, 0x0
	global_atomic_cmpswap_x2 v[2:3], v6, v[12:15], s[6:7] offset:32 glc
	s_waitcnt vmcnt(0)
	v_cmpx_ne_u64_e64 v[2:3], v[14:15]
	s_cbranch_execz .LBB6_807
; %bb.805:
	s_mov_b32 s11, 0
.LBB6_806:                              ; =>This Inner Loop Header: Depth=1
	v_mov_b32_e32 v0, s8
	v_mov_b32_e32 v1, s9
	s_sleep 1
	global_store_dwordx2 v[4:5], v[2:3], off
	s_waitcnt_vscnt null, 0x0
	global_atomic_cmpswap_x2 v[0:1], v6, v[0:3], s[6:7] offset:32 glc
	s_waitcnt vmcnt(0)
	v_cmp_eq_u64_e32 vcc_lo, v[0:1], v[2:3]
	v_mov_b32_e32 v3, v1
	v_mov_b32_e32 v2, v0
	s_or_b32 s11, vcc_lo, s11
	s_andn2_b32 exec_lo, exec_lo, s11
	s_cbranch_execnz .LBB6_806
.LBB6_807:
	s_or_b32 exec_lo, exec_lo, s10
	v_mov_b32_e32 v3, 0
	s_mov_b32 s11, exec_lo
	s_mov_b32 s10, exec_lo
	v_mbcnt_lo_u32_b32 v2, s11, 0
	global_load_dwordx2 v[0:1], v3, s[6:7] offset:16
	v_cmpx_eq_u32_e32 0, v2
	s_cbranch_execz .LBB6_809
; %bb.808:
	s_bcnt1_i32_b32 s11, s11
	v_mov_b32_e32 v2, s11
	s_waitcnt vmcnt(0)
	global_atomic_add_x2 v[0:1], v[2:3], off offset:8
.LBB6_809:
	s_or_b32 exec_lo, exec_lo, s10
	s_waitcnt vmcnt(0)
	global_load_dwordx2 v[2:3], v[0:1], off offset:16
	s_waitcnt vmcnt(0)
	v_cmp_eq_u64_e32 vcc_lo, 0, v[2:3]
	s_cbranch_vccnz .LBB6_811
; %bb.810:
	global_load_dword v0, v[0:1], off offset:24
	v_mov_b32_e32 v1, 0
	s_waitcnt vmcnt(0)
	v_readfirstlane_b32 s10, v0
	s_waitcnt_vscnt null, 0x0
	global_store_dwordx2 v[2:3], v[0:1], off
	s_and_b32 m0, s10, 0x7fffff
	s_sendmsg sendmsg(MSG_INTERRUPT)
.LBB6_811:
	s_or_b32 exec_lo, exec_lo, s5
	s_branch .LBB6_815
.LBB6_812:                              ;   in Loop: Header=BB6_815 Depth=1
	s_or_b32 exec_lo, exec_lo, s5
	v_readfirstlane_b32 s5, v0
	s_cmp_eq_u32 s5, 0
	s_cbranch_scc1 .LBB6_814
; %bb.813:                              ;   in Loop: Header=BB6_815 Depth=1
	s_sleep 1
	s_cbranch_execnz .LBB6_815
	s_branch .LBB6_817
.LBB6_814:
	s_branch .LBB6_817
.LBB6_815:                              ; =>This Inner Loop Header: Depth=1
	v_mov_b32_e32 v0, 1
	s_and_saveexec_b32 s5, s4
	s_cbranch_execz .LBB6_812
; %bb.816:                              ;   in Loop: Header=BB6_815 Depth=1
	global_load_dword v0, v[8:9], off offset:20 glc dlc
	s_waitcnt vmcnt(0)
	buffer_gl1_inv
	buffer_gl0_inv
	v_and_b32_e32 v0, 1, v0
	s_branch .LBB6_812
.LBB6_817:
	global_load_dwordx2 v[0:1], v[10:11], off
	s_and_saveexec_b32 s10, s4
	s_cbranch_execz .LBB6_821
; %bb.818:
	v_mov_b32_e32 v8, 0
	s_clause 0x2
	global_load_dwordx2 v[2:3], v8, s[6:7] offset:40
	global_load_dwordx2 v[11:12], v8, s[6:7] offset:24 glc dlc
	global_load_dwordx2 v[4:5], v8, s[6:7]
	s_waitcnt vmcnt(2)
	v_readfirstlane_b32 s12, v2
	v_readfirstlane_b32 s13, v3
	s_add_u32 s11, s12, 1
	s_addc_u32 s14, s13, 0
	s_add_u32 s4, s11, s8
	s_addc_u32 s5, s14, s9
	s_cmp_eq_u64 s[4:5], 0
	s_cselect_b32 s5, s14, s5
	s_cselect_b32 s4, s11, s4
	v_mov_b32_e32 v10, s5
	s_and_b64 s[8:9], s[4:5], s[12:13]
	v_mov_b32_e32 v9, s4
	s_mul_i32 s9, s9, 24
	s_mul_hi_u32 s11, s8, 24
	s_mul_i32 s8, s8, 24
	s_add_i32 s11, s11, s9
	s_waitcnt vmcnt(0)
	v_add_co_u32 v6, vcc_lo, v4, s8
	v_add_co_ci_u32_e64 v7, null, s11, v5, vcc_lo
	global_store_dwordx2 v[6:7], v[11:12], off
	s_waitcnt_vscnt null, 0x0
	global_atomic_cmpswap_x2 v[4:5], v8, v[9:12], s[6:7] offset:24 glc
	s_waitcnt vmcnt(0)
	v_cmp_ne_u64_e32 vcc_lo, v[4:5], v[11:12]
	s_and_b32 exec_lo, exec_lo, vcc_lo
	s_cbranch_execz .LBB6_821
; %bb.819:
	s_mov_b32 s8, 0
.LBB6_820:                              ; =>This Inner Loop Header: Depth=1
	v_mov_b32_e32 v2, s4
	v_mov_b32_e32 v3, s5
	s_sleep 1
	global_store_dwordx2 v[6:7], v[4:5], off
	s_waitcnt_vscnt null, 0x0
	global_atomic_cmpswap_x2 v[2:3], v8, v[2:5], s[6:7] offset:24 glc
	s_waitcnt vmcnt(0)
	v_cmp_eq_u64_e32 vcc_lo, v[2:3], v[4:5]
	v_mov_b32_e32 v5, v3
	v_mov_b32_e32 v4, v2
	s_or_b32 s8, vcc_lo, s8
	s_andn2_b32 exec_lo, exec_lo, s8
	s_cbranch_execnz .LBB6_820
.LBB6_821:
	s_or_b32 exec_lo, exec_lo, s10
	s_getpc_b64 s[8:9]
	s_add_u32 s8, s8, .str.28@rel32@lo+4
	s_addc_u32 s9, s9, .str.28@rel32@hi+12
	s_cmp_lg_u64 s[8:9], 0
	s_cbranch_scc0 .LBB6_907
; %bb.822:
	s_waitcnt vmcnt(0)
	v_and_b32_e32 v6, -3, v0
	v_mov_b32_e32 v7, v1
	v_mov_b32_e32 v3, 0
	;; [unrolled: 1-line block ×4, first 2 shown]
	s_mov_b64 s[10:11], 35
	s_branch .LBB6_824
.LBB6_823:                              ;   in Loop: Header=BB6_824 Depth=1
	s_or_b32 exec_lo, exec_lo, s16
	s_sub_u32 s10, s10, s12
	s_subb_u32 s11, s11, s13
	s_add_u32 s8, s8, s12
	s_addc_u32 s9, s9, s13
	s_cmp_lg_u64 s[10:11], 0
	s_cbranch_scc0 .LBB6_906
.LBB6_824:                              ; =>This Loop Header: Depth=1
                                        ;     Child Loop BB6_827 Depth 2
                                        ;     Child Loop BB6_835 Depth 2
                                        ;     Child Loop BB6_843 Depth 2
                                        ;     Child Loop BB6_851 Depth 2
                                        ;     Child Loop BB6_859 Depth 2
                                        ;     Child Loop BB6_867 Depth 2
                                        ;     Child Loop BB6_875 Depth 2
                                        ;     Child Loop BB6_883 Depth 2
                                        ;     Child Loop BB6_891 Depth 2
                                        ;     Child Loop BB6_900 Depth 2
                                        ;     Child Loop BB6_905 Depth 2
	v_cmp_lt_u64_e64 s4, s[10:11], 56
	v_cmp_gt_u64_e64 s14, s[10:11], 7
	s_and_b32 s4, s4, exec_lo
	s_cselect_b32 s13, s11, 0
	s_cselect_b32 s12, s10, 56
	s_add_u32 s4, s8, 8
	s_addc_u32 s5, s9, 0
	s_and_b32 vcc_lo, exec_lo, s14
	s_cbranch_vccnz .LBB6_829
; %bb.825:                              ;   in Loop: Header=BB6_824 Depth=1
	s_waitcnt vmcnt(0)
	v_mov_b32_e32 v8, 0
	v_mov_b32_e32 v9, 0
	s_cmp_eq_u64 s[10:11], 0
	s_cbranch_scc1 .LBB6_828
; %bb.826:                              ;   in Loop: Header=BB6_824 Depth=1
	s_lshl_b64 s[4:5], s[12:13], 3
	s_mov_b64 s[14:15], 0
	s_mov_b64 s[16:17], s[8:9]
.LBB6_827:                              ;   Parent Loop BB6_824 Depth=1
                                        ; =>  This Inner Loop Header: Depth=2
	global_load_ubyte v2, v3, s[16:17]
	s_waitcnt vmcnt(0)
	v_and_b32_e32 v2, 0xffff, v2
	v_lshlrev_b64 v[10:11], s14, v[2:3]
	s_add_u32 s14, s14, 8
	s_addc_u32 s15, s15, 0
	s_add_u32 s16, s16, 1
	s_addc_u32 s17, s17, 0
	s_cmp_lg_u32 s4, s14
	v_or_b32_e32 v8, v10, v8
	v_or_b32_e32 v9, v11, v9
	s_cbranch_scc1 .LBB6_827
.LBB6_828:                              ;   in Loop: Header=BB6_824 Depth=1
	s_mov_b32 s14, 0
	s_mov_b64 s[4:5], s[8:9]
	s_branch .LBB6_830
.LBB6_829:                              ;   in Loop: Header=BB6_824 Depth=1
	s_mov_b32 s14, -1
.LBB6_830:                              ;   in Loop: Header=BB6_824 Depth=1
	s_andn2_b32 vcc_lo, exec_lo, s14
	s_mov_b32 s18, 0
	s_cbranch_vccnz .LBB6_832
; %bb.831:                              ;   in Loop: Header=BB6_824 Depth=1
	global_load_dwordx2 v[8:9], v3, s[8:9]
	s_add_i32 s18, s12, -8
.LBB6_832:                              ;   in Loop: Header=BB6_824 Depth=1
	s_add_u32 s14, s4, 8
	s_addc_u32 s15, s5, 0
	s_cmp_gt_u32 s18, 7
	s_cbranch_scc1 .LBB6_837
; %bb.833:                              ;   in Loop: Header=BB6_824 Depth=1
	v_mov_b32_e32 v10, 0
	v_mov_b32_e32 v11, 0
	s_cmp_eq_u32 s18, 0
	s_cbranch_scc1 .LBB6_836
; %bb.834:                              ;   in Loop: Header=BB6_824 Depth=1
	s_mov_b64 s[14:15], 0
	s_mov_b64 s[16:17], 0
.LBB6_835:                              ;   Parent Loop BB6_824 Depth=1
                                        ; =>  This Inner Loop Header: Depth=2
	s_add_u32 s26, s4, s16
	s_addc_u32 s27, s5, s17
	s_add_u32 s16, s16, 1
	global_load_ubyte v2, v3, s[26:27]
	s_addc_u32 s17, s17, 0
	s_waitcnt vmcnt(0)
	v_and_b32_e32 v2, 0xffff, v2
	v_lshlrev_b64 v[12:13], s14, v[2:3]
	s_add_u32 s14, s14, 8
	s_addc_u32 s15, s15, 0
	s_cmp_lg_u32 s18, s16
	v_or_b32_e32 v10, v12, v10
	v_or_b32_e32 v11, v13, v11
	s_cbranch_scc1 .LBB6_835
.LBB6_836:                              ;   in Loop: Header=BB6_824 Depth=1
	s_mov_b32 s16, 0
	s_mov_b64 s[14:15], s[4:5]
	s_branch .LBB6_838
.LBB6_837:                              ;   in Loop: Header=BB6_824 Depth=1
	s_mov_b32 s16, -1
                                        ; implicit-def: $vgpr10_vgpr11
.LBB6_838:                              ;   in Loop: Header=BB6_824 Depth=1
	s_andn2_b32 vcc_lo, exec_lo, s16
	s_mov_b32 s19, 0
	s_cbranch_vccnz .LBB6_840
; %bb.839:                              ;   in Loop: Header=BB6_824 Depth=1
	global_load_dwordx2 v[10:11], v3, s[4:5]
	s_add_i32 s19, s18, -8
.LBB6_840:                              ;   in Loop: Header=BB6_824 Depth=1
	s_add_u32 s4, s14, 8
	s_addc_u32 s5, s15, 0
	s_cmp_gt_u32 s19, 7
	s_cbranch_scc1 .LBB6_845
; %bb.841:                              ;   in Loop: Header=BB6_824 Depth=1
	v_mov_b32_e32 v12, 0
	v_mov_b32_e32 v13, 0
	s_cmp_eq_u32 s19, 0
	s_cbranch_scc1 .LBB6_844
; %bb.842:                              ;   in Loop: Header=BB6_824 Depth=1
	s_mov_b64 s[4:5], 0
	s_mov_b64 s[16:17], 0
.LBB6_843:                              ;   Parent Loop BB6_824 Depth=1
                                        ; =>  This Inner Loop Header: Depth=2
	s_add_u32 s26, s14, s16
	s_addc_u32 s27, s15, s17
	s_add_u32 s16, s16, 1
	global_load_ubyte v2, v3, s[26:27]
	s_addc_u32 s17, s17, 0
	s_waitcnt vmcnt(0)
	v_and_b32_e32 v2, 0xffff, v2
	v_lshlrev_b64 v[14:15], s4, v[2:3]
	s_add_u32 s4, s4, 8
	s_addc_u32 s5, s5, 0
	s_cmp_lg_u32 s19, s16
	v_or_b32_e32 v12, v14, v12
	v_or_b32_e32 v13, v15, v13
	s_cbranch_scc1 .LBB6_843
.LBB6_844:                              ;   in Loop: Header=BB6_824 Depth=1
	s_mov_b32 s16, 0
	s_mov_b64 s[4:5], s[14:15]
	s_branch .LBB6_846
.LBB6_845:                              ;   in Loop: Header=BB6_824 Depth=1
	s_mov_b32 s16, -1
.LBB6_846:                              ;   in Loop: Header=BB6_824 Depth=1
	s_andn2_b32 vcc_lo, exec_lo, s16
	s_mov_b32 s18, 0
	s_cbranch_vccnz .LBB6_848
; %bb.847:                              ;   in Loop: Header=BB6_824 Depth=1
	global_load_dwordx2 v[12:13], v3, s[14:15]
	s_add_i32 s18, s19, -8
.LBB6_848:                              ;   in Loop: Header=BB6_824 Depth=1
	s_add_u32 s14, s4, 8
	s_addc_u32 s15, s5, 0
	s_cmp_gt_u32 s18, 7
	s_cbranch_scc1 .LBB6_853
; %bb.849:                              ;   in Loop: Header=BB6_824 Depth=1
	v_mov_b32_e32 v14, 0
	v_mov_b32_e32 v15, 0
	s_cmp_eq_u32 s18, 0
	s_cbranch_scc1 .LBB6_852
; %bb.850:                              ;   in Loop: Header=BB6_824 Depth=1
	s_mov_b64 s[14:15], 0
	s_mov_b64 s[16:17], 0
.LBB6_851:                              ;   Parent Loop BB6_824 Depth=1
                                        ; =>  This Inner Loop Header: Depth=2
	s_add_u32 s26, s4, s16
	s_addc_u32 s27, s5, s17
	s_add_u32 s16, s16, 1
	global_load_ubyte v2, v3, s[26:27]
	s_addc_u32 s17, s17, 0
	s_waitcnt vmcnt(0)
	v_and_b32_e32 v2, 0xffff, v2
	v_lshlrev_b64 v[16:17], s14, v[2:3]
	s_add_u32 s14, s14, 8
	s_addc_u32 s15, s15, 0
	s_cmp_lg_u32 s18, s16
	v_or_b32_e32 v14, v16, v14
	v_or_b32_e32 v15, v17, v15
	s_cbranch_scc1 .LBB6_851
.LBB6_852:                              ;   in Loop: Header=BB6_824 Depth=1
	s_mov_b32 s16, 0
	s_mov_b64 s[14:15], s[4:5]
	s_branch .LBB6_854
.LBB6_853:                              ;   in Loop: Header=BB6_824 Depth=1
	s_mov_b32 s16, -1
                                        ; implicit-def: $vgpr14_vgpr15
.LBB6_854:                              ;   in Loop: Header=BB6_824 Depth=1
	s_andn2_b32 vcc_lo, exec_lo, s16
	s_mov_b32 s19, 0
	s_cbranch_vccnz .LBB6_856
; %bb.855:                              ;   in Loop: Header=BB6_824 Depth=1
	global_load_dwordx2 v[14:15], v3, s[4:5]
	s_add_i32 s19, s18, -8
.LBB6_856:                              ;   in Loop: Header=BB6_824 Depth=1
	s_add_u32 s4, s14, 8
	s_addc_u32 s5, s15, 0
	s_cmp_gt_u32 s19, 7
	s_cbranch_scc1 .LBB6_861
; %bb.857:                              ;   in Loop: Header=BB6_824 Depth=1
	v_mov_b32_e32 v16, 0
	v_mov_b32_e32 v17, 0
	s_cmp_eq_u32 s19, 0
	s_cbranch_scc1 .LBB6_860
; %bb.858:                              ;   in Loop: Header=BB6_824 Depth=1
	s_mov_b64 s[4:5], 0
	s_mov_b64 s[16:17], 0
.LBB6_859:                              ;   Parent Loop BB6_824 Depth=1
                                        ; =>  This Inner Loop Header: Depth=2
	s_add_u32 s26, s14, s16
	s_addc_u32 s27, s15, s17
	s_add_u32 s16, s16, 1
	global_load_ubyte v2, v3, s[26:27]
	s_addc_u32 s17, s17, 0
	s_waitcnt vmcnt(0)
	v_and_b32_e32 v2, 0xffff, v2
	v_lshlrev_b64 v[18:19], s4, v[2:3]
	s_add_u32 s4, s4, 8
	s_addc_u32 s5, s5, 0
	s_cmp_lg_u32 s19, s16
	v_or_b32_e32 v16, v18, v16
	v_or_b32_e32 v17, v19, v17
	s_cbranch_scc1 .LBB6_859
.LBB6_860:                              ;   in Loop: Header=BB6_824 Depth=1
	s_mov_b32 s16, 0
	s_mov_b64 s[4:5], s[14:15]
	s_branch .LBB6_862
.LBB6_861:                              ;   in Loop: Header=BB6_824 Depth=1
	s_mov_b32 s16, -1
.LBB6_862:                              ;   in Loop: Header=BB6_824 Depth=1
	s_andn2_b32 vcc_lo, exec_lo, s16
	s_mov_b32 s18, 0
	s_cbranch_vccnz .LBB6_864
; %bb.863:                              ;   in Loop: Header=BB6_824 Depth=1
	global_load_dwordx2 v[16:17], v3, s[14:15]
	s_add_i32 s18, s19, -8
.LBB6_864:                              ;   in Loop: Header=BB6_824 Depth=1
	s_add_u32 s14, s4, 8
	s_addc_u32 s15, s5, 0
	s_cmp_gt_u32 s18, 7
	s_cbranch_scc1 .LBB6_869
; %bb.865:                              ;   in Loop: Header=BB6_824 Depth=1
	v_mov_b32_e32 v18, 0
	v_mov_b32_e32 v19, 0
	s_cmp_eq_u32 s18, 0
	s_cbranch_scc1 .LBB6_868
; %bb.866:                              ;   in Loop: Header=BB6_824 Depth=1
	s_mov_b64 s[14:15], 0
	s_mov_b64 s[16:17], 0
.LBB6_867:                              ;   Parent Loop BB6_824 Depth=1
                                        ; =>  This Inner Loop Header: Depth=2
	s_add_u32 s26, s4, s16
	s_addc_u32 s27, s5, s17
	s_add_u32 s16, s16, 1
	global_load_ubyte v2, v3, s[26:27]
	s_addc_u32 s17, s17, 0
	s_waitcnt vmcnt(0)
	v_and_b32_e32 v2, 0xffff, v2
	v_lshlrev_b64 v[20:21], s14, v[2:3]
	s_add_u32 s14, s14, 8
	s_addc_u32 s15, s15, 0
	s_cmp_lg_u32 s18, s16
	v_or_b32_e32 v18, v20, v18
	v_or_b32_e32 v19, v21, v19
	s_cbranch_scc1 .LBB6_867
.LBB6_868:                              ;   in Loop: Header=BB6_824 Depth=1
	s_mov_b32 s16, 0
	s_mov_b64 s[14:15], s[4:5]
	s_branch .LBB6_870
.LBB6_869:                              ;   in Loop: Header=BB6_824 Depth=1
	s_mov_b32 s16, -1
                                        ; implicit-def: $vgpr18_vgpr19
.LBB6_870:                              ;   in Loop: Header=BB6_824 Depth=1
	s_andn2_b32 vcc_lo, exec_lo, s16
	s_mov_b32 s19, 0
	s_cbranch_vccnz .LBB6_872
; %bb.871:                              ;   in Loop: Header=BB6_824 Depth=1
	global_load_dwordx2 v[18:19], v3, s[4:5]
	s_add_i32 s19, s18, -8
.LBB6_872:                              ;   in Loop: Header=BB6_824 Depth=1
	s_cmp_gt_u32 s19, 7
	s_cbranch_scc1 .LBB6_877
; %bb.873:                              ;   in Loop: Header=BB6_824 Depth=1
	v_mov_b32_e32 v20, 0
	v_mov_b32_e32 v21, 0
	s_cmp_eq_u32 s19, 0
	s_cbranch_scc1 .LBB6_876
; %bb.874:                              ;   in Loop: Header=BB6_824 Depth=1
	s_mov_b64 s[4:5], 0
	s_mov_b64 s[16:17], s[14:15]
.LBB6_875:                              ;   Parent Loop BB6_824 Depth=1
                                        ; =>  This Inner Loop Header: Depth=2
	global_load_ubyte v2, v3, s[16:17]
	s_add_i32 s19, s19, -1
	s_waitcnt vmcnt(0)
	v_and_b32_e32 v2, 0xffff, v2
	v_lshlrev_b64 v[22:23], s4, v[2:3]
	s_add_u32 s4, s4, 8
	s_addc_u32 s5, s5, 0
	s_add_u32 s16, s16, 1
	s_addc_u32 s17, s17, 0
	s_cmp_lg_u32 s19, 0
	v_or_b32_e32 v20, v22, v20
	v_or_b32_e32 v21, v23, v21
	s_cbranch_scc1 .LBB6_875
.LBB6_876:                              ;   in Loop: Header=BB6_824 Depth=1
	s_mov_b32 s4, 0
	s_branch .LBB6_878
.LBB6_877:                              ;   in Loop: Header=BB6_824 Depth=1
	s_mov_b32 s4, -1
.LBB6_878:                              ;   in Loop: Header=BB6_824 Depth=1
	s_andn2_b32 vcc_lo, exec_lo, s4
	s_cbranch_vccnz .LBB6_880
; %bb.879:                              ;   in Loop: Header=BB6_824 Depth=1
	global_load_dwordx2 v[20:21], v3, s[14:15]
.LBB6_880:                              ;   in Loop: Header=BB6_824 Depth=1
	v_readfirstlane_b32 s4, v29
	v_mov_b32_e32 v26, 0
	v_mov_b32_e32 v27, 0
	v_cmp_eq_u32_e64 s4, s4, v29
	s_and_saveexec_b32 s5, s4
	s_cbranch_execz .LBB6_886
; %bb.881:                              ;   in Loop: Header=BB6_824 Depth=1
	global_load_dwordx2 v[24:25], v3, s[6:7] offset:24 glc dlc
	s_waitcnt vmcnt(0)
	buffer_gl1_inv
	buffer_gl0_inv
	s_clause 0x1
	global_load_dwordx2 v[22:23], v3, s[6:7] offset:40
	global_load_dwordx2 v[26:27], v3, s[6:7]
	s_mov_b32 s14, exec_lo
	s_waitcnt vmcnt(1)
	v_and_b32_e32 v2, v23, v25
	v_and_b32_e32 v22, v22, v24
	v_mul_lo_u32 v2, v2, 24
	v_mul_hi_u32 v23, v22, 24
	v_mul_lo_u32 v22, v22, 24
	v_add_nc_u32_e32 v2, v23, v2
	s_waitcnt vmcnt(0)
	v_add_co_u32 v22, vcc_lo, v26, v22
	v_add_co_ci_u32_e64 v23, null, v27, v2, vcc_lo
	global_load_dwordx2 v[22:23], v[22:23], off glc dlc
	s_waitcnt vmcnt(0)
	global_atomic_cmpswap_x2 v[26:27], v3, v[22:25], s[6:7] offset:24 glc
	s_waitcnt vmcnt(0)
	buffer_gl1_inv
	buffer_gl0_inv
	v_cmpx_ne_u64_e64 v[26:27], v[24:25]
	s_cbranch_execz .LBB6_885
; %bb.882:                              ;   in Loop: Header=BB6_824 Depth=1
	s_mov_b32 s15, 0
.LBB6_883:                              ;   Parent Loop BB6_824 Depth=1
                                        ; =>  This Inner Loop Header: Depth=2
	s_sleep 1
	s_clause 0x1
	global_load_dwordx2 v[22:23], v3, s[6:7] offset:40
	global_load_dwordx2 v[30:31], v3, s[6:7]
	v_mov_b32_e32 v24, v26
	v_mov_b32_e32 v25, v27
	s_waitcnt vmcnt(1)
	v_and_b32_e32 v2, v22, v24
	v_and_b32_e32 v22, v23, v25
	s_waitcnt vmcnt(0)
	v_mad_u64_u32 v[26:27], null, v2, 24, v[30:31]
	v_mov_b32_e32 v2, v27
	v_mad_u64_u32 v[22:23], null, v22, 24, v[2:3]
	v_mov_b32_e32 v27, v22
	global_load_dwordx2 v[22:23], v[26:27], off glc dlc
	s_waitcnt vmcnt(0)
	global_atomic_cmpswap_x2 v[26:27], v3, v[22:25], s[6:7] offset:24 glc
	s_waitcnt vmcnt(0)
	buffer_gl1_inv
	buffer_gl0_inv
	v_cmp_eq_u64_e32 vcc_lo, v[26:27], v[24:25]
	s_or_b32 s15, vcc_lo, s15
	s_andn2_b32 exec_lo, exec_lo, s15
	s_cbranch_execnz .LBB6_883
; %bb.884:                              ;   in Loop: Header=BB6_824 Depth=1
	s_or_b32 exec_lo, exec_lo, s15
.LBB6_885:                              ;   in Loop: Header=BB6_824 Depth=1
	s_or_b32 exec_lo, exec_lo, s14
.LBB6_886:                              ;   in Loop: Header=BB6_824 Depth=1
	s_or_b32 exec_lo, exec_lo, s5
	s_clause 0x1
	global_load_dwordx2 v[30:31], v3, s[6:7] offset:40
	global_load_dwordx4 v[22:25], v3, s[6:7]
	v_readfirstlane_b32 s15, v27
	v_readfirstlane_b32 s14, v26
	s_mov_b32 s5, exec_lo
	s_waitcnt vmcnt(1)
	v_readfirstlane_b32 s16, v30
	v_readfirstlane_b32 s17, v31
	s_and_b64 s[16:17], s[16:17], s[14:15]
	s_mul_i32 s18, s17, 24
	s_mul_hi_u32 s19, s16, 24
	s_mul_i32 s20, s16, 24
	s_add_i32 s19, s19, s18
	s_waitcnt vmcnt(0)
	v_add_co_u32 v26, vcc_lo, v22, s20
	v_add_co_ci_u32_e64 v27, null, s19, v23, vcc_lo
	s_and_saveexec_b32 s18, s4
	s_cbranch_execz .LBB6_888
; %bb.887:                              ;   in Loop: Header=BB6_824 Depth=1
	v_mov_b32_e32 v2, s5
	global_store_dwordx4 v[26:27], v[2:5], off offset:8
.LBB6_888:                              ;   in Loop: Header=BB6_824 Depth=1
	s_or_b32 exec_lo, exec_lo, s18
	v_cmp_gt_u64_e64 s5, s[10:11], 56
	s_lshl_b64 s[16:17], s[16:17], 12
	v_and_b32_e32 v2, 0xffffff1f, v6
	v_add_co_u32 v24, vcc_lo, v24, s16
	v_add_co_ci_u32_e64 v25, null, s17, v25, vcc_lo
	s_and_b32 s5, s5, exec_lo
	s_cselect_b32 s5, 0, 2
	s_lshl_b32 s18, s12, 2
	v_or_b32_e32 v2, s5, v2
	v_readfirstlane_b32 s16, v24
	v_readfirstlane_b32 s17, v25
	s_add_i32 s18, s18, 28
	v_and_or_b32 v6, 0x1e0, s18, v2
	global_store_dwordx4 v28, v[10:13], s[16:17] offset:16
	global_store_dwordx4 v28, v[14:17], s[16:17] offset:32
	global_store_dwordx4 v28, v[6:9], s[16:17]
	global_store_dwordx4 v28, v[18:21], s[16:17] offset:48
	s_and_saveexec_b32 s5, s4
	s_cbranch_execz .LBB6_896
; %bb.889:                              ;   in Loop: Header=BB6_824 Depth=1
	s_clause 0x1
	global_load_dwordx2 v[14:15], v3, s[6:7] offset:32 glc dlc
	global_load_dwordx2 v[6:7], v3, s[6:7] offset:40
	v_mov_b32_e32 v12, s14
	v_mov_b32_e32 v13, s15
	s_waitcnt vmcnt(0)
	v_readfirstlane_b32 s16, v6
	v_readfirstlane_b32 s17, v7
	s_and_b64 s[16:17], s[16:17], s[14:15]
	s_mul_i32 s17, s17, 24
	s_mul_hi_u32 s18, s16, 24
	s_mul_i32 s16, s16, 24
	s_add_i32 s18, s18, s17
	v_add_co_u32 v10, vcc_lo, v22, s16
	v_add_co_ci_u32_e64 v11, null, s18, v23, vcc_lo
	s_mov_b32 s16, exec_lo
	global_store_dwordx2 v[10:11], v[14:15], off
	s_waitcnt_vscnt null, 0x0
	global_atomic_cmpswap_x2 v[8:9], v3, v[12:15], s[6:7] offset:32 glc
	s_waitcnt vmcnt(0)
	v_cmpx_ne_u64_e64 v[8:9], v[14:15]
	s_cbranch_execz .LBB6_892
; %bb.890:                              ;   in Loop: Header=BB6_824 Depth=1
	s_mov_b32 s17, 0
.LBB6_891:                              ;   Parent Loop BB6_824 Depth=1
                                        ; =>  This Inner Loop Header: Depth=2
	v_mov_b32_e32 v6, s14
	v_mov_b32_e32 v7, s15
	s_sleep 1
	global_store_dwordx2 v[10:11], v[8:9], off
	s_waitcnt_vscnt null, 0x0
	global_atomic_cmpswap_x2 v[6:7], v3, v[6:9], s[6:7] offset:32 glc
	s_waitcnt vmcnt(0)
	v_cmp_eq_u64_e32 vcc_lo, v[6:7], v[8:9]
	v_mov_b32_e32 v9, v7
	v_mov_b32_e32 v8, v6
	s_or_b32 s17, vcc_lo, s17
	s_andn2_b32 exec_lo, exec_lo, s17
	s_cbranch_execnz .LBB6_891
.LBB6_892:                              ;   in Loop: Header=BB6_824 Depth=1
	s_or_b32 exec_lo, exec_lo, s16
	global_load_dwordx2 v[6:7], v3, s[6:7] offset:16
	s_mov_b32 s17, exec_lo
	s_mov_b32 s16, exec_lo
	v_mbcnt_lo_u32_b32 v2, s17, 0
	v_cmpx_eq_u32_e32 0, v2
	s_cbranch_execz .LBB6_894
; %bb.893:                              ;   in Loop: Header=BB6_824 Depth=1
	s_bcnt1_i32_b32 s17, s17
	v_mov_b32_e32 v2, s17
	s_waitcnt vmcnt(0)
	global_atomic_add_x2 v[6:7], v[2:3], off offset:8
.LBB6_894:                              ;   in Loop: Header=BB6_824 Depth=1
	s_or_b32 exec_lo, exec_lo, s16
	s_waitcnt vmcnt(0)
	global_load_dwordx2 v[8:9], v[6:7], off offset:16
	s_waitcnt vmcnt(0)
	v_cmp_eq_u64_e32 vcc_lo, 0, v[8:9]
	s_cbranch_vccnz .LBB6_896
; %bb.895:                              ;   in Loop: Header=BB6_824 Depth=1
	global_load_dword v2, v[6:7], off offset:24
	s_waitcnt vmcnt(0)
	v_readfirstlane_b32 s16, v2
	s_waitcnt_vscnt null, 0x0
	global_store_dwordx2 v[8:9], v[2:3], off
	s_and_b32 m0, s16, 0x7fffff
	s_sendmsg sendmsg(MSG_INTERRUPT)
.LBB6_896:                              ;   in Loop: Header=BB6_824 Depth=1
	s_or_b32 exec_lo, exec_lo, s5
	v_add_co_u32 v6, vcc_lo, v24, v28
	v_add_co_ci_u32_e64 v7, null, 0, v25, vcc_lo
	s_branch .LBB6_900
.LBB6_897:                              ;   in Loop: Header=BB6_900 Depth=2
	s_or_b32 exec_lo, exec_lo, s5
	v_readfirstlane_b32 s5, v2
	s_cmp_eq_u32 s5, 0
	s_cbranch_scc1 .LBB6_899
; %bb.898:                              ;   in Loop: Header=BB6_900 Depth=2
	s_sleep 1
	s_cbranch_execnz .LBB6_900
	s_branch .LBB6_902
.LBB6_899:                              ;   in Loop: Header=BB6_824 Depth=1
	s_branch .LBB6_902
.LBB6_900:                              ;   Parent Loop BB6_824 Depth=1
                                        ; =>  This Inner Loop Header: Depth=2
	v_mov_b32_e32 v2, 1
	s_and_saveexec_b32 s5, s4
	s_cbranch_execz .LBB6_897
; %bb.901:                              ;   in Loop: Header=BB6_900 Depth=2
	global_load_dword v2, v[26:27], off offset:20 glc dlc
	s_waitcnt vmcnt(0)
	buffer_gl1_inv
	buffer_gl0_inv
	v_and_b32_e32 v2, 1, v2
	s_branch .LBB6_897
.LBB6_902:                              ;   in Loop: Header=BB6_824 Depth=1
	global_load_dwordx4 v[6:9], v[6:7], off
	s_and_saveexec_b32 s16, s4
	s_cbranch_execz .LBB6_823
; %bb.903:                              ;   in Loop: Header=BB6_824 Depth=1
	s_clause 0x2
	global_load_dwordx2 v[8:9], v3, s[6:7] offset:40
	global_load_dwordx2 v[16:17], v3, s[6:7] offset:24 glc dlc
	global_load_dwordx2 v[10:11], v3, s[6:7]
	s_waitcnt vmcnt(2)
	v_readfirstlane_b32 s18, v8
	v_readfirstlane_b32 s19, v9
	s_add_u32 s17, s18, 1
	s_addc_u32 s20, s19, 0
	s_add_u32 s4, s17, s14
	s_addc_u32 s5, s20, s15
	s_cmp_eq_u64 s[4:5], 0
	s_cselect_b32 s5, s20, s5
	s_cselect_b32 s4, s17, s4
	v_mov_b32_e32 v15, s5
	s_and_b64 s[14:15], s[4:5], s[18:19]
	v_mov_b32_e32 v14, s4
	s_mul_i32 s15, s15, 24
	s_mul_hi_u32 s17, s14, 24
	s_mul_i32 s14, s14, 24
	s_add_i32 s17, s17, s15
	s_waitcnt vmcnt(0)
	v_add_co_u32 v12, vcc_lo, v10, s14
	v_add_co_ci_u32_e64 v13, null, s17, v11, vcc_lo
	global_store_dwordx2 v[12:13], v[16:17], off
	s_waitcnt_vscnt null, 0x0
	global_atomic_cmpswap_x2 v[10:11], v3, v[14:17], s[6:7] offset:24 glc
	s_waitcnt vmcnt(0)
	v_cmp_ne_u64_e32 vcc_lo, v[10:11], v[16:17]
	s_and_b32 exec_lo, exec_lo, vcc_lo
	s_cbranch_execz .LBB6_823
; %bb.904:                              ;   in Loop: Header=BB6_824 Depth=1
	s_mov_b32 s14, 0
.LBB6_905:                              ;   Parent Loop BB6_824 Depth=1
                                        ; =>  This Inner Loop Header: Depth=2
	v_mov_b32_e32 v8, s4
	v_mov_b32_e32 v9, s5
	s_sleep 1
	global_store_dwordx2 v[12:13], v[10:11], off
	s_waitcnt_vscnt null, 0x0
	global_atomic_cmpswap_x2 v[8:9], v3, v[8:11], s[6:7] offset:24 glc
	s_waitcnt vmcnt(0)
	v_cmp_eq_u64_e32 vcc_lo, v[8:9], v[10:11]
	v_mov_b32_e32 v11, v9
	v_mov_b32_e32 v10, v8
	s_or_b32 s14, vcc_lo, s14
	s_andn2_b32 exec_lo, exec_lo, s14
	s_cbranch_execnz .LBB6_905
	s_branch .LBB6_823
.LBB6_906:
	s_mov_b32 s4, 0
	s_branch .LBB6_908
.LBB6_907:
	s_mov_b32 s4, -1
.LBB6_908:
	s_and_b32 vcc_lo, exec_lo, s4
	s_cbranch_vccz .LBB6_936
; %bb.909:
	v_readfirstlane_b32 s4, v29
	s_waitcnt vmcnt(0)
	v_mov_b32_e32 v8, 0
	v_mov_b32_e32 v9, 0
	v_cmp_eq_u32_e64 s4, s4, v29
	s_and_saveexec_b32 s5, s4
	s_cbranch_execz .LBB6_915
; %bb.910:
	v_mov_b32_e32 v2, 0
	s_mov_b32 s8, exec_lo
	global_load_dwordx2 v[5:6], v2, s[6:7] offset:24 glc dlc
	s_waitcnt vmcnt(0)
	buffer_gl1_inv
	buffer_gl0_inv
	s_clause 0x1
	global_load_dwordx2 v[3:4], v2, s[6:7] offset:40
	global_load_dwordx2 v[7:8], v2, s[6:7]
	s_waitcnt vmcnt(1)
	v_and_b32_e32 v4, v4, v6
	v_and_b32_e32 v3, v3, v5
	v_mul_lo_u32 v4, v4, 24
	v_mul_hi_u32 v9, v3, 24
	v_mul_lo_u32 v3, v3, 24
	v_add_nc_u32_e32 v4, v9, v4
	s_waitcnt vmcnt(0)
	v_add_co_u32 v3, vcc_lo, v7, v3
	v_add_co_ci_u32_e64 v4, null, v8, v4, vcc_lo
	global_load_dwordx2 v[3:4], v[3:4], off glc dlc
	s_waitcnt vmcnt(0)
	global_atomic_cmpswap_x2 v[8:9], v2, v[3:6], s[6:7] offset:24 glc
	s_waitcnt vmcnt(0)
	buffer_gl1_inv
	buffer_gl0_inv
	v_cmpx_ne_u64_e64 v[8:9], v[5:6]
	s_cbranch_execz .LBB6_914
; %bb.911:
	s_mov_b32 s9, 0
.LBB6_912:                              ; =>This Inner Loop Header: Depth=1
	s_sleep 1
	s_clause 0x1
	global_load_dwordx2 v[3:4], v2, s[6:7] offset:40
	global_load_dwordx2 v[10:11], v2, s[6:7]
	v_mov_b32_e32 v5, v8
	v_mov_b32_e32 v6, v9
	s_waitcnt vmcnt(1)
	v_and_b32_e32 v3, v3, v5
	v_and_b32_e32 v4, v4, v6
	s_waitcnt vmcnt(0)
	v_mad_u64_u32 v[7:8], null, v3, 24, v[10:11]
	v_mov_b32_e32 v3, v8
	v_mad_u64_u32 v[3:4], null, v4, 24, v[3:4]
	v_mov_b32_e32 v8, v3
	global_load_dwordx2 v[3:4], v[7:8], off glc dlc
	s_waitcnt vmcnt(0)
	global_atomic_cmpswap_x2 v[8:9], v2, v[3:6], s[6:7] offset:24 glc
	s_waitcnt vmcnt(0)
	buffer_gl1_inv
	buffer_gl0_inv
	v_cmp_eq_u64_e32 vcc_lo, v[8:9], v[5:6]
	s_or_b32 s9, vcc_lo, s9
	s_andn2_b32 exec_lo, exec_lo, s9
	s_cbranch_execnz .LBB6_912
; %bb.913:
	s_or_b32 exec_lo, exec_lo, s9
.LBB6_914:
	s_or_b32 exec_lo, exec_lo, s8
.LBB6_915:
	s_or_b32 exec_lo, exec_lo, s5
	v_mov_b32_e32 v2, 0
	v_readfirstlane_b32 s9, v9
	v_readfirstlane_b32 s8, v8
	s_mov_b32 s5, exec_lo
	s_clause 0x1
	global_load_dwordx2 v[10:11], v2, s[6:7] offset:40
	global_load_dwordx4 v[4:7], v2, s[6:7]
	s_waitcnt vmcnt(1)
	v_readfirstlane_b32 s10, v10
	v_readfirstlane_b32 s11, v11
	s_and_b64 s[10:11], s[10:11], s[8:9]
	s_mul_i32 s12, s11, 24
	s_mul_hi_u32 s13, s10, 24
	s_mul_i32 s14, s10, 24
	s_add_i32 s13, s13, s12
	s_waitcnt vmcnt(0)
	v_add_co_u32 v8, vcc_lo, v4, s14
	v_add_co_ci_u32_e64 v9, null, s13, v5, vcc_lo
	s_and_saveexec_b32 s12, s4
	s_cbranch_execz .LBB6_917
; %bb.916:
	v_mov_b32_e32 v10, s5
	v_mov_b32_e32 v11, v2
	;; [unrolled: 1-line block ×4, first 2 shown]
	global_store_dwordx4 v[8:9], v[10:13], off offset:8
.LBB6_917:
	s_or_b32 exec_lo, exec_lo, s12
	s_lshl_b64 s[10:11], s[10:11], 12
	s_mov_b32 s12, 0
	v_add_co_u32 v6, vcc_lo, v6, s10
	v_add_co_ci_u32_e64 v7, null, s11, v7, vcc_lo
	s_mov_b32 s13, s12
	s_mov_b32 s14, s12
	;; [unrolled: 1-line block ×3, first 2 shown]
	v_and_or_b32 v0, 0xffffff1d, v0, 34
	v_mov_b32_e32 v3, v2
	v_readfirstlane_b32 s10, v6
	v_readfirstlane_b32 s11, v7
	v_mov_b32_e32 v10, s12
	v_mov_b32_e32 v11, s13
	v_mov_b32_e32 v12, s14
	v_mov_b32_e32 v13, s15
	global_store_dwordx4 v28, v[0:3], s[10:11]
	global_store_dwordx4 v28, v[10:13], s[10:11] offset:16
	global_store_dwordx4 v28, v[10:13], s[10:11] offset:32
	global_store_dwordx4 v28, v[10:13], s[10:11] offset:48
	s_and_saveexec_b32 s5, s4
	s_cbranch_execz .LBB6_925
; %bb.918:
	v_mov_b32_e32 v6, 0
	v_mov_b32_e32 v10, s8
	;; [unrolled: 1-line block ×3, first 2 shown]
	s_clause 0x1
	global_load_dwordx2 v[12:13], v6, s[6:7] offset:32 glc dlc
	global_load_dwordx2 v[0:1], v6, s[6:7] offset:40
	s_waitcnt vmcnt(0)
	v_readfirstlane_b32 s10, v0
	v_readfirstlane_b32 s11, v1
	s_and_b64 s[10:11], s[10:11], s[8:9]
	s_mul_i32 s11, s11, 24
	s_mul_hi_u32 s12, s10, 24
	s_mul_i32 s10, s10, 24
	s_add_i32 s12, s12, s11
	v_add_co_u32 v4, vcc_lo, v4, s10
	v_add_co_ci_u32_e64 v5, null, s12, v5, vcc_lo
	s_mov_b32 s10, exec_lo
	global_store_dwordx2 v[4:5], v[12:13], off
	s_waitcnt_vscnt null, 0x0
	global_atomic_cmpswap_x2 v[2:3], v6, v[10:13], s[6:7] offset:32 glc
	s_waitcnt vmcnt(0)
	v_cmpx_ne_u64_e64 v[2:3], v[12:13]
	s_cbranch_execz .LBB6_921
; %bb.919:
	s_mov_b32 s11, 0
.LBB6_920:                              ; =>This Inner Loop Header: Depth=1
	v_mov_b32_e32 v0, s8
	v_mov_b32_e32 v1, s9
	s_sleep 1
	global_store_dwordx2 v[4:5], v[2:3], off
	s_waitcnt_vscnt null, 0x0
	global_atomic_cmpswap_x2 v[0:1], v6, v[0:3], s[6:7] offset:32 glc
	s_waitcnt vmcnt(0)
	v_cmp_eq_u64_e32 vcc_lo, v[0:1], v[2:3]
	v_mov_b32_e32 v3, v1
	v_mov_b32_e32 v2, v0
	s_or_b32 s11, vcc_lo, s11
	s_andn2_b32 exec_lo, exec_lo, s11
	s_cbranch_execnz .LBB6_920
.LBB6_921:
	s_or_b32 exec_lo, exec_lo, s10
	v_mov_b32_e32 v3, 0
	s_mov_b32 s11, exec_lo
	s_mov_b32 s10, exec_lo
	v_mbcnt_lo_u32_b32 v2, s11, 0
	global_load_dwordx2 v[0:1], v3, s[6:7] offset:16
	v_cmpx_eq_u32_e32 0, v2
	s_cbranch_execz .LBB6_923
; %bb.922:
	s_bcnt1_i32_b32 s11, s11
	v_mov_b32_e32 v2, s11
	s_waitcnt vmcnt(0)
	global_atomic_add_x2 v[0:1], v[2:3], off offset:8
.LBB6_923:
	s_or_b32 exec_lo, exec_lo, s10
	s_waitcnt vmcnt(0)
	global_load_dwordx2 v[2:3], v[0:1], off offset:16
	s_waitcnt vmcnt(0)
	v_cmp_eq_u64_e32 vcc_lo, 0, v[2:3]
	s_cbranch_vccnz .LBB6_925
; %bb.924:
	global_load_dword v0, v[0:1], off offset:24
	v_mov_b32_e32 v1, 0
	s_waitcnt vmcnt(0)
	v_readfirstlane_b32 s10, v0
	s_waitcnt_vscnt null, 0x0
	global_store_dwordx2 v[2:3], v[0:1], off
	s_and_b32 m0, s10, 0x7fffff
	s_sendmsg sendmsg(MSG_INTERRUPT)
.LBB6_925:
	s_or_b32 exec_lo, exec_lo, s5
	s_branch .LBB6_929
.LBB6_926:                              ;   in Loop: Header=BB6_929 Depth=1
	s_or_b32 exec_lo, exec_lo, s5
	v_readfirstlane_b32 s5, v0
	s_cmp_eq_u32 s5, 0
	s_cbranch_scc1 .LBB6_928
; %bb.927:                              ;   in Loop: Header=BB6_929 Depth=1
	s_sleep 1
	s_cbranch_execnz .LBB6_929
	s_branch .LBB6_931
.LBB6_928:
	s_branch .LBB6_931
.LBB6_929:                              ; =>This Inner Loop Header: Depth=1
	v_mov_b32_e32 v0, 1
	s_and_saveexec_b32 s5, s4
	s_cbranch_execz .LBB6_926
; %bb.930:                              ;   in Loop: Header=BB6_929 Depth=1
	global_load_dword v0, v[8:9], off offset:20 glc dlc
	s_waitcnt vmcnt(0)
	buffer_gl1_inv
	buffer_gl0_inv
	v_and_b32_e32 v0, 1, v0
	s_branch .LBB6_926
.LBB6_931:
	s_and_saveexec_b32 s10, s4
	s_cbranch_execz .LBB6_935
; %bb.932:
	v_mov_b32_e32 v6, 0
	s_clause 0x2
	global_load_dwordx2 v[0:1], v6, s[6:7] offset:40
	global_load_dwordx2 v[9:10], v6, s[6:7] offset:24 glc dlc
	global_load_dwordx2 v[2:3], v6, s[6:7]
	s_waitcnt vmcnt(2)
	v_readfirstlane_b32 s12, v0
	v_readfirstlane_b32 s13, v1
	s_add_u32 s11, s12, 1
	s_addc_u32 s14, s13, 0
	s_add_u32 s4, s11, s8
	s_addc_u32 s5, s14, s9
	s_cmp_eq_u64 s[4:5], 0
	s_cselect_b32 s5, s14, s5
	s_cselect_b32 s4, s11, s4
	v_mov_b32_e32 v8, s5
	s_and_b64 s[8:9], s[4:5], s[12:13]
	v_mov_b32_e32 v7, s4
	s_mul_i32 s9, s9, 24
	s_mul_hi_u32 s11, s8, 24
	s_mul_i32 s8, s8, 24
	s_add_i32 s11, s11, s9
	s_waitcnt vmcnt(0)
	v_add_co_u32 v4, vcc_lo, v2, s8
	v_add_co_ci_u32_e64 v5, null, s11, v3, vcc_lo
	global_store_dwordx2 v[4:5], v[9:10], off
	s_waitcnt_vscnt null, 0x0
	global_atomic_cmpswap_x2 v[2:3], v6, v[7:10], s[6:7] offset:24 glc
	s_waitcnt vmcnt(0)
	v_cmp_ne_u64_e32 vcc_lo, v[2:3], v[9:10]
	s_and_b32 exec_lo, exec_lo, vcc_lo
	s_cbranch_execz .LBB6_935
; %bb.933:
	s_mov_b32 s8, 0
.LBB6_934:                              ; =>This Inner Loop Header: Depth=1
	v_mov_b32_e32 v0, s4
	v_mov_b32_e32 v1, s5
	s_sleep 1
	global_store_dwordx2 v[4:5], v[2:3], off
	s_waitcnt_vscnt null, 0x0
	global_atomic_cmpswap_x2 v[0:1], v6, v[0:3], s[6:7] offset:24 glc
	s_waitcnt vmcnt(0)
	v_cmp_eq_u64_e32 vcc_lo, v[0:1], v[2:3]
	v_mov_b32_e32 v3, v1
	v_mov_b32_e32 v2, v0
	s_or_b32 s8, vcc_lo, s8
	s_andn2_b32 exec_lo, exec_lo, s8
	s_cbranch_execnz .LBB6_934
.LBB6_935:
	s_or_b32 exec_lo, exec_lo, s10
.LBB6_936:
	s_getpc_b64 s[4:5]
	s_add_u32 s4, s4, .str.29@rel32@lo+4
	s_addc_u32 s5, s5, .str.29@rel32@hi+12
	s_getpc_b64 s[6:7]
	s_add_u32 s6, s6, .str.19@rel32@lo+4
	s_addc_u32 s7, s7, .str.19@rel32@hi+12
	s_getpc_b64 s[8:9]
	s_add_u32 s8, s8, __PRETTY_FUNCTION__._ZN7VecsMemIjLi8192EE5fetchEi@rel32@lo+4
	s_addc_u32 s9, s9, __PRETTY_FUNCTION__._ZN7VecsMemIjLi8192EE5fetchEi@rel32@hi+12
	s_waitcnt vmcnt(0)
	v_mov_b32_e32 v0, s4
	v_mov_b32_e32 v1, s5
	v_mov_b32_e32 v2, s6
	v_mov_b32_e32 v3, s7
	v_mov_b32_e32 v4, 12
	v_mov_b32_e32 v5, s8
	v_mov_b32_e32 v6, s9
	s_getpc_b64 s[10:11]
	s_add_u32 s10, s10, __assert_fail@rel32@lo+4
	s_addc_u32 s11, s11, __assert_fail@rel32@hi+12
	s_mov_b64 s[8:9], s[52:53]
	s_swappc_b64 s[30:31], s[10:11]
	v_readlane_b32 s4, v59, 0
	s_or_b32 s4, s4, exec_lo
.LBB6_937:
	s_or_b32 exec_lo, exec_lo, s24
	v_readlane_b32 s5, v59, 0
	s_and_b32 s4, s4, exec_lo
	s_andn2_b32 s5, s5, exec_lo
	s_or_b32 s67, s5, s4
	s_orn2_b32 s4, s23, exec_lo
.LBB6_938:
	s_or_b32 exec_lo, exec_lo, s22
	s_mov_b32 s5, 0
                                        ; implicit-def: $vgpr41
	s_and_saveexec_b32 s68, s4
	s_cbranch_execz .LBB6_1310
; %bb.939:
	v_mov_b32_e32 v69, 0
	v_mov_b32_e32 v0, 0
	;; [unrolled: 1-line block ×3, first 2 shown]
	s_mov_b32 s4, -1
	s_mov_b32 s69, s67
	buffer_store_dword v67, off, s[0:3], s33 offset:52
	buffer_store_dword v66, off, s[0:3], s33 offset:48
	;; [unrolled: 1-line block ×3, first 2 shown]
	s_and_saveexec_b32 s22, s21
	s_cbranch_execz .LBB6_1086
; %bb.940:
	flat_load_dword v0, v[44:45]
	v_mov_b32_e32 v69, 0
	v_mov_b32_e32 v70, 0
	s_mov_b32 s21, 0
	s_mov_b32 s4, exec_lo
	s_waitcnt vmcnt(0) lgkmcnt(0)
	v_add_nc_u32_e32 v0, v0, v68
	v_cmpx_gt_i32_e32 0x2001, v0
	s_xor_b32 s4, exec_lo, s4
	s_cbranch_execz .LBB6_942
; %bb.941:
	v_ashrrev_i32_e32 v1, 31, v0
	v_mov_b32_e32 v69, 0
	s_mov_b32 s21, exec_lo
	flat_store_dword v[44:45], v0
	v_lshlrev_b64 v[1:2], 2, v[0:1]
	v_lshlrev_b64 v[3:4], 2, v[68:69]
	v_add_co_u32 v1, vcc_lo, v44, v1
	v_add_co_ci_u32_e64 v2, null, v45, v2, vcc_lo
	v_sub_co_u32 v1, vcc_lo, v1, v3
	v_sub_co_ci_u32_e64 v2, null, v2, v4, vcc_lo
	v_add_co_u32 v69, vcc_lo, v1, 4
	v_add_co_ci_u32_e64 v70, null, 0, v2, vcc_lo
.LBB6_942:
	s_or_saveexec_b32 s23, s4
	s_mov_b32 s4, s67
	s_xor_b32 exec_lo, exec_lo, s23
	s_cbranch_execz .LBB6_1085
; %bb.943:
	s_load_dwordx2 s[6:7], s[52:53], 0x50
	v_mbcnt_lo_u32_b32 v29, -1, 0
	v_mov_b32_e32 v6, 0
	v_mov_b32_e32 v7, 0
	v_readfirstlane_b32 s4, v29
	v_cmp_eq_u32_e64 s4, s4, v29
	s_and_saveexec_b32 s5, s4
	s_cbranch_execz .LBB6_949
; %bb.944:
	v_mov_b32_e32 v0, 0
	s_mov_b32 s8, exec_lo
	s_waitcnt lgkmcnt(0)
	global_load_dwordx2 v[3:4], v0, s[6:7] offset:24 glc dlc
	s_waitcnt vmcnt(0)
	buffer_gl1_inv
	buffer_gl0_inv
	s_clause 0x1
	global_load_dwordx2 v[1:2], v0, s[6:7] offset:40
	global_load_dwordx2 v[5:6], v0, s[6:7]
	s_waitcnt vmcnt(1)
	v_and_b32_e32 v2, v2, v4
	v_and_b32_e32 v1, v1, v3
	v_mul_lo_u32 v2, v2, 24
	v_mul_hi_u32 v7, v1, 24
	v_mul_lo_u32 v1, v1, 24
	v_add_nc_u32_e32 v2, v7, v2
	s_waitcnt vmcnt(0)
	v_add_co_u32 v1, vcc_lo, v5, v1
	v_add_co_ci_u32_e64 v2, null, v6, v2, vcc_lo
	global_load_dwordx2 v[1:2], v[1:2], off glc dlc
	s_waitcnt vmcnt(0)
	global_atomic_cmpswap_x2 v[6:7], v0, v[1:4], s[6:7] offset:24 glc
	s_waitcnt vmcnt(0)
	buffer_gl1_inv
	buffer_gl0_inv
	v_cmpx_ne_u64_e64 v[6:7], v[3:4]
	s_cbranch_execz .LBB6_948
; %bb.945:
	s_mov_b32 s9, 0
.LBB6_946:                              ; =>This Inner Loop Header: Depth=1
	s_sleep 1
	s_clause 0x1
	global_load_dwordx2 v[1:2], v0, s[6:7] offset:40
	global_load_dwordx2 v[8:9], v0, s[6:7]
	v_mov_b32_e32 v3, v6
	v_mov_b32_e32 v4, v7
	s_waitcnt vmcnt(1)
	v_and_b32_e32 v1, v1, v3
	v_and_b32_e32 v2, v2, v4
	s_waitcnt vmcnt(0)
	v_mad_u64_u32 v[5:6], null, v1, 24, v[8:9]
	v_mov_b32_e32 v1, v6
	v_mad_u64_u32 v[1:2], null, v2, 24, v[1:2]
	v_mov_b32_e32 v6, v1
	global_load_dwordx2 v[1:2], v[5:6], off glc dlc
	s_waitcnt vmcnt(0)
	global_atomic_cmpswap_x2 v[6:7], v0, v[1:4], s[6:7] offset:24 glc
	s_waitcnt vmcnt(0)
	buffer_gl1_inv
	buffer_gl0_inv
	v_cmp_eq_u64_e32 vcc_lo, v[6:7], v[3:4]
	s_or_b32 s9, vcc_lo, s9
	s_andn2_b32 exec_lo, exec_lo, s9
	s_cbranch_execnz .LBB6_946
; %bb.947:
	s_or_b32 exec_lo, exec_lo, s9
.LBB6_948:
	s_or_b32 exec_lo, exec_lo, s8
.LBB6_949:
	s_or_b32 exec_lo, exec_lo, s5
	v_mov_b32_e32 v5, 0
	v_readfirstlane_b32 s9, v7
	v_readfirstlane_b32 s8, v6
	s_mov_b32 s5, exec_lo
	s_waitcnt lgkmcnt(0)
	s_clause 0x1
	global_load_dwordx2 v[8:9], v5, s[6:7] offset:40
	global_load_dwordx4 v[0:3], v5, s[6:7]
	s_waitcnt vmcnt(1)
	v_readfirstlane_b32 s10, v8
	v_readfirstlane_b32 s11, v9
	s_and_b64 s[10:11], s[10:11], s[8:9]
	s_mul_i32 s12, s11, 24
	s_mul_hi_u32 s13, s10, 24
	s_mul_i32 s14, s10, 24
	s_add_i32 s13, s13, s12
	s_waitcnt vmcnt(0)
	v_add_co_u32 v8, vcc_lo, v0, s14
	v_add_co_ci_u32_e64 v9, null, s13, v1, vcc_lo
	s_and_saveexec_b32 s12, s4
	s_cbranch_execz .LBB6_951
; %bb.950:
	v_mov_b32_e32 v4, s5
	v_mov_b32_e32 v6, 2
	;; [unrolled: 1-line block ×3, first 2 shown]
	global_store_dwordx4 v[8:9], v[4:7], off offset:8
.LBB6_951:
	s_or_b32 exec_lo, exec_lo, s12
	s_lshl_b64 s[10:11], s[10:11], 12
	v_lshlrev_b32_e32 v28, 6, v29
	v_add_co_u32 v2, vcc_lo, v2, s10
	v_add_co_ci_u32_e64 v3, null, s11, v3, vcc_lo
	s_mov_b32 s12, 0
	v_add_co_u32 v10, vcc_lo, v2, v28
	s_mov_b32 s13, s12
	s_mov_b32 s14, s12
	;; [unrolled: 1-line block ×3, first 2 shown]
	v_mov_b32_e32 v4, 33
	v_mov_b32_e32 v6, v5
	;; [unrolled: 1-line block ×3, first 2 shown]
	v_readfirstlane_b32 s10, v2
	v_readfirstlane_b32 s11, v3
	v_mov_b32_e32 v12, s12
	v_add_co_ci_u32_e64 v11, null, 0, v3, vcc_lo
	v_mov_b32_e32 v13, s13
	v_mov_b32_e32 v14, s14
	;; [unrolled: 1-line block ×3, first 2 shown]
	global_store_dwordx4 v28, v[4:7], s[10:11]
	global_store_dwordx4 v28, v[12:15], s[10:11] offset:16
	global_store_dwordx4 v28, v[12:15], s[10:11] offset:32
	;; [unrolled: 1-line block ×3, first 2 shown]
	s_and_saveexec_b32 s5, s4
	s_cbranch_execz .LBB6_959
; %bb.952:
	v_mov_b32_e32 v6, 0
	v_mov_b32_e32 v12, s8
	v_mov_b32_e32 v13, s9
	s_mov_b32 s10, exec_lo
	s_clause 0x1
	global_load_dwordx2 v[14:15], v6, s[6:7] offset:32 glc dlc
	global_load_dwordx2 v[2:3], v6, s[6:7] offset:40
	s_waitcnt vmcnt(0)
	v_and_b32_e32 v3, s9, v3
	v_and_b32_e32 v2, s8, v2
	v_mul_lo_u32 v3, v3, 24
	v_mul_hi_u32 v4, v2, 24
	v_mul_lo_u32 v2, v2, 24
	v_add_nc_u32_e32 v3, v4, v3
	v_add_co_u32 v4, vcc_lo, v0, v2
	v_add_co_ci_u32_e64 v5, null, v1, v3, vcc_lo
	global_store_dwordx2 v[4:5], v[14:15], off
	s_waitcnt_vscnt null, 0x0
	global_atomic_cmpswap_x2 v[2:3], v6, v[12:15], s[6:7] offset:32 glc
	s_waitcnt vmcnt(0)
	v_cmpx_ne_u64_e64 v[2:3], v[14:15]
	s_cbranch_execz .LBB6_955
; %bb.953:
	s_mov_b32 s11, 0
.LBB6_954:                              ; =>This Inner Loop Header: Depth=1
	v_mov_b32_e32 v0, s8
	v_mov_b32_e32 v1, s9
	s_sleep 1
	global_store_dwordx2 v[4:5], v[2:3], off
	s_waitcnt_vscnt null, 0x0
	global_atomic_cmpswap_x2 v[0:1], v6, v[0:3], s[6:7] offset:32 glc
	s_waitcnt vmcnt(0)
	v_cmp_eq_u64_e32 vcc_lo, v[0:1], v[2:3]
	v_mov_b32_e32 v3, v1
	v_mov_b32_e32 v2, v0
	s_or_b32 s11, vcc_lo, s11
	s_andn2_b32 exec_lo, exec_lo, s11
	s_cbranch_execnz .LBB6_954
.LBB6_955:
	s_or_b32 exec_lo, exec_lo, s10
	v_mov_b32_e32 v3, 0
	s_mov_b32 s11, exec_lo
	s_mov_b32 s10, exec_lo
	v_mbcnt_lo_u32_b32 v2, s11, 0
	global_load_dwordx2 v[0:1], v3, s[6:7] offset:16
	v_cmpx_eq_u32_e32 0, v2
	s_cbranch_execz .LBB6_957
; %bb.956:
	s_bcnt1_i32_b32 s11, s11
	v_mov_b32_e32 v2, s11
	s_waitcnt vmcnt(0)
	global_atomic_add_x2 v[0:1], v[2:3], off offset:8
.LBB6_957:
	s_or_b32 exec_lo, exec_lo, s10
	s_waitcnt vmcnt(0)
	global_load_dwordx2 v[2:3], v[0:1], off offset:16
	s_waitcnt vmcnt(0)
	v_cmp_eq_u64_e32 vcc_lo, 0, v[2:3]
	s_cbranch_vccnz .LBB6_959
; %bb.958:
	global_load_dword v0, v[0:1], off offset:24
	v_mov_b32_e32 v1, 0
	s_waitcnt vmcnt(0)
	v_readfirstlane_b32 s10, v0
	s_waitcnt_vscnt null, 0x0
	global_store_dwordx2 v[2:3], v[0:1], off
	s_and_b32 m0, s10, 0x7fffff
	s_sendmsg sendmsg(MSG_INTERRUPT)
.LBB6_959:
	s_or_b32 exec_lo, exec_lo, s5
	s_branch .LBB6_963
.LBB6_960:                              ;   in Loop: Header=BB6_963 Depth=1
	s_or_b32 exec_lo, exec_lo, s5
	v_readfirstlane_b32 s5, v0
	s_cmp_eq_u32 s5, 0
	s_cbranch_scc1 .LBB6_962
; %bb.961:                              ;   in Loop: Header=BB6_963 Depth=1
	s_sleep 1
	s_cbranch_execnz .LBB6_963
	s_branch .LBB6_965
.LBB6_962:
	s_branch .LBB6_965
.LBB6_963:                              ; =>This Inner Loop Header: Depth=1
	v_mov_b32_e32 v0, 1
	s_and_saveexec_b32 s5, s4
	s_cbranch_execz .LBB6_960
; %bb.964:                              ;   in Loop: Header=BB6_963 Depth=1
	global_load_dword v0, v[8:9], off offset:20 glc dlc
	s_waitcnt vmcnt(0)
	buffer_gl1_inv
	buffer_gl0_inv
	v_and_b32_e32 v0, 1, v0
	s_branch .LBB6_960
.LBB6_965:
	global_load_dwordx2 v[0:1], v[10:11], off
	s_and_saveexec_b32 s10, s4
	s_cbranch_execz .LBB6_969
; %bb.966:
	v_mov_b32_e32 v8, 0
	s_clause 0x2
	global_load_dwordx2 v[2:3], v8, s[6:7] offset:40
	global_load_dwordx2 v[11:12], v8, s[6:7] offset:24 glc dlc
	global_load_dwordx2 v[4:5], v8, s[6:7]
	s_waitcnt vmcnt(2)
	v_readfirstlane_b32 s12, v2
	v_readfirstlane_b32 s13, v3
	s_add_u32 s11, s12, 1
	s_addc_u32 s14, s13, 0
	s_add_u32 s4, s11, s8
	s_addc_u32 s5, s14, s9
	s_cmp_eq_u64 s[4:5], 0
	s_cselect_b32 s5, s14, s5
	s_cselect_b32 s4, s11, s4
	v_mov_b32_e32 v10, s5
	s_and_b64 s[8:9], s[4:5], s[12:13]
	v_mov_b32_e32 v9, s4
	s_mul_i32 s9, s9, 24
	s_mul_hi_u32 s11, s8, 24
	s_mul_i32 s8, s8, 24
	s_add_i32 s11, s11, s9
	s_waitcnt vmcnt(0)
	v_add_co_u32 v6, vcc_lo, v4, s8
	v_add_co_ci_u32_e64 v7, null, s11, v5, vcc_lo
	global_store_dwordx2 v[6:7], v[11:12], off
	s_waitcnt_vscnt null, 0x0
	global_atomic_cmpswap_x2 v[4:5], v8, v[9:12], s[6:7] offset:24 glc
	s_waitcnt vmcnt(0)
	v_cmp_ne_u64_e32 vcc_lo, v[4:5], v[11:12]
	s_and_b32 exec_lo, exec_lo, vcc_lo
	s_cbranch_execz .LBB6_969
; %bb.967:
	s_mov_b32 s8, 0
.LBB6_968:                              ; =>This Inner Loop Header: Depth=1
	v_mov_b32_e32 v2, s4
	v_mov_b32_e32 v3, s5
	s_sleep 1
	global_store_dwordx2 v[6:7], v[4:5], off
	s_waitcnt_vscnt null, 0x0
	global_atomic_cmpswap_x2 v[2:3], v8, v[2:5], s[6:7] offset:24 glc
	s_waitcnt vmcnt(0)
	v_cmp_eq_u64_e32 vcc_lo, v[2:3], v[4:5]
	v_mov_b32_e32 v5, v3
	v_mov_b32_e32 v4, v2
	s_or_b32 s8, vcc_lo, s8
	s_andn2_b32 exec_lo, exec_lo, s8
	s_cbranch_execnz .LBB6_968
.LBB6_969:
	s_or_b32 exec_lo, exec_lo, s10
	s_getpc_b64 s[8:9]
	s_add_u32 s8, s8, .str.28@rel32@lo+4
	s_addc_u32 s9, s9, .str.28@rel32@hi+12
	s_cmp_lg_u64 s[8:9], 0
	s_cbranch_scc0 .LBB6_1055
; %bb.970:
	s_waitcnt vmcnt(0)
	v_and_b32_e32 v6, -3, v0
	v_mov_b32_e32 v7, v1
	v_mov_b32_e32 v3, 0
	;; [unrolled: 1-line block ×4, first 2 shown]
	s_mov_b64 s[10:11], 35
	s_branch .LBB6_972
.LBB6_971:                              ;   in Loop: Header=BB6_972 Depth=1
	s_or_b32 exec_lo, exec_lo, s16
	s_sub_u32 s10, s10, s12
	s_subb_u32 s11, s11, s13
	s_add_u32 s8, s8, s12
	s_addc_u32 s9, s9, s13
	s_cmp_lg_u64 s[10:11], 0
	s_cbranch_scc0 .LBB6_1054
.LBB6_972:                              ; =>This Loop Header: Depth=1
                                        ;     Child Loop BB6_975 Depth 2
                                        ;     Child Loop BB6_983 Depth 2
	;; [unrolled: 1-line block ×11, first 2 shown]
	v_cmp_lt_u64_e64 s4, s[10:11], 56
	v_cmp_gt_u64_e64 s14, s[10:11], 7
	s_and_b32 s4, s4, exec_lo
	s_cselect_b32 s13, s11, 0
	s_cselect_b32 s12, s10, 56
	s_add_u32 s4, s8, 8
	s_addc_u32 s5, s9, 0
	s_and_b32 vcc_lo, exec_lo, s14
	s_cbranch_vccnz .LBB6_977
; %bb.973:                              ;   in Loop: Header=BB6_972 Depth=1
	s_waitcnt vmcnt(0)
	v_mov_b32_e32 v8, 0
	v_mov_b32_e32 v9, 0
	s_cmp_eq_u64 s[10:11], 0
	s_cbranch_scc1 .LBB6_976
; %bb.974:                              ;   in Loop: Header=BB6_972 Depth=1
	s_lshl_b64 s[4:5], s[12:13], 3
	s_mov_b64 s[14:15], 0
	s_mov_b64 s[16:17], s[8:9]
.LBB6_975:                              ;   Parent Loop BB6_972 Depth=1
                                        ; =>  This Inner Loop Header: Depth=2
	global_load_ubyte v2, v3, s[16:17]
	s_waitcnt vmcnt(0)
	v_and_b32_e32 v2, 0xffff, v2
	v_lshlrev_b64 v[10:11], s14, v[2:3]
	s_add_u32 s14, s14, 8
	s_addc_u32 s15, s15, 0
	s_add_u32 s16, s16, 1
	s_addc_u32 s17, s17, 0
	s_cmp_lg_u32 s4, s14
	v_or_b32_e32 v8, v10, v8
	v_or_b32_e32 v9, v11, v9
	s_cbranch_scc1 .LBB6_975
.LBB6_976:                              ;   in Loop: Header=BB6_972 Depth=1
	s_mov_b32 s14, 0
	s_mov_b64 s[4:5], s[8:9]
	s_branch .LBB6_978
.LBB6_977:                              ;   in Loop: Header=BB6_972 Depth=1
	s_mov_b32 s14, -1
.LBB6_978:                              ;   in Loop: Header=BB6_972 Depth=1
	s_andn2_b32 vcc_lo, exec_lo, s14
	s_mov_b32 s18, 0
	s_cbranch_vccnz .LBB6_980
; %bb.979:                              ;   in Loop: Header=BB6_972 Depth=1
	global_load_dwordx2 v[8:9], v3, s[8:9]
	s_add_i32 s18, s12, -8
.LBB6_980:                              ;   in Loop: Header=BB6_972 Depth=1
	s_add_u32 s14, s4, 8
	s_addc_u32 s15, s5, 0
	s_cmp_gt_u32 s18, 7
	s_cbranch_scc1 .LBB6_985
; %bb.981:                              ;   in Loop: Header=BB6_972 Depth=1
	v_mov_b32_e32 v10, 0
	v_mov_b32_e32 v11, 0
	s_cmp_eq_u32 s18, 0
	s_cbranch_scc1 .LBB6_984
; %bb.982:                              ;   in Loop: Header=BB6_972 Depth=1
	s_mov_b64 s[14:15], 0
	s_mov_b64 s[16:17], 0
.LBB6_983:                              ;   Parent Loop BB6_972 Depth=1
                                        ; =>  This Inner Loop Header: Depth=2
	s_add_u32 s24, s4, s16
	s_addc_u32 s25, s5, s17
	s_add_u32 s16, s16, 1
	global_load_ubyte v2, v3, s[24:25]
	s_addc_u32 s17, s17, 0
	s_waitcnt vmcnt(0)
	v_and_b32_e32 v2, 0xffff, v2
	v_lshlrev_b64 v[12:13], s14, v[2:3]
	s_add_u32 s14, s14, 8
	s_addc_u32 s15, s15, 0
	s_cmp_lg_u32 s18, s16
	v_or_b32_e32 v10, v12, v10
	v_or_b32_e32 v11, v13, v11
	s_cbranch_scc1 .LBB6_983
.LBB6_984:                              ;   in Loop: Header=BB6_972 Depth=1
	s_mov_b32 s16, 0
	s_mov_b64 s[14:15], s[4:5]
	s_branch .LBB6_986
.LBB6_985:                              ;   in Loop: Header=BB6_972 Depth=1
	s_mov_b32 s16, -1
                                        ; implicit-def: $vgpr10_vgpr11
.LBB6_986:                              ;   in Loop: Header=BB6_972 Depth=1
	s_andn2_b32 vcc_lo, exec_lo, s16
	s_mov_b32 s19, 0
	s_cbranch_vccnz .LBB6_988
; %bb.987:                              ;   in Loop: Header=BB6_972 Depth=1
	global_load_dwordx2 v[10:11], v3, s[4:5]
	s_add_i32 s19, s18, -8
.LBB6_988:                              ;   in Loop: Header=BB6_972 Depth=1
	s_add_u32 s4, s14, 8
	s_addc_u32 s5, s15, 0
	s_cmp_gt_u32 s19, 7
	s_cbranch_scc1 .LBB6_993
; %bb.989:                              ;   in Loop: Header=BB6_972 Depth=1
	v_mov_b32_e32 v12, 0
	v_mov_b32_e32 v13, 0
	s_cmp_eq_u32 s19, 0
	s_cbranch_scc1 .LBB6_992
; %bb.990:                              ;   in Loop: Header=BB6_972 Depth=1
	s_mov_b64 s[4:5], 0
	s_mov_b64 s[16:17], 0
.LBB6_991:                              ;   Parent Loop BB6_972 Depth=1
                                        ; =>  This Inner Loop Header: Depth=2
	s_add_u32 s24, s14, s16
	s_addc_u32 s25, s15, s17
	s_add_u32 s16, s16, 1
	global_load_ubyte v2, v3, s[24:25]
	s_addc_u32 s17, s17, 0
	s_waitcnt vmcnt(0)
	v_and_b32_e32 v2, 0xffff, v2
	v_lshlrev_b64 v[14:15], s4, v[2:3]
	s_add_u32 s4, s4, 8
	s_addc_u32 s5, s5, 0
	s_cmp_lg_u32 s19, s16
	v_or_b32_e32 v12, v14, v12
	v_or_b32_e32 v13, v15, v13
	s_cbranch_scc1 .LBB6_991
.LBB6_992:                              ;   in Loop: Header=BB6_972 Depth=1
	s_mov_b32 s16, 0
	s_mov_b64 s[4:5], s[14:15]
	s_branch .LBB6_994
.LBB6_993:                              ;   in Loop: Header=BB6_972 Depth=1
	s_mov_b32 s16, -1
.LBB6_994:                              ;   in Loop: Header=BB6_972 Depth=1
	s_andn2_b32 vcc_lo, exec_lo, s16
	s_mov_b32 s18, 0
	s_cbranch_vccnz .LBB6_996
; %bb.995:                              ;   in Loop: Header=BB6_972 Depth=1
	global_load_dwordx2 v[12:13], v3, s[14:15]
	s_add_i32 s18, s19, -8
.LBB6_996:                              ;   in Loop: Header=BB6_972 Depth=1
	s_add_u32 s14, s4, 8
	s_addc_u32 s15, s5, 0
	s_cmp_gt_u32 s18, 7
	s_cbranch_scc1 .LBB6_1001
; %bb.997:                              ;   in Loop: Header=BB6_972 Depth=1
	v_mov_b32_e32 v14, 0
	v_mov_b32_e32 v15, 0
	s_cmp_eq_u32 s18, 0
	s_cbranch_scc1 .LBB6_1000
; %bb.998:                              ;   in Loop: Header=BB6_972 Depth=1
	s_mov_b64 s[14:15], 0
	s_mov_b64 s[16:17], 0
.LBB6_999:                              ;   Parent Loop BB6_972 Depth=1
                                        ; =>  This Inner Loop Header: Depth=2
	s_add_u32 s24, s4, s16
	s_addc_u32 s25, s5, s17
	s_add_u32 s16, s16, 1
	global_load_ubyte v2, v3, s[24:25]
	s_addc_u32 s17, s17, 0
	s_waitcnt vmcnt(0)
	v_and_b32_e32 v2, 0xffff, v2
	v_lshlrev_b64 v[16:17], s14, v[2:3]
	s_add_u32 s14, s14, 8
	s_addc_u32 s15, s15, 0
	s_cmp_lg_u32 s18, s16
	v_or_b32_e32 v14, v16, v14
	v_or_b32_e32 v15, v17, v15
	s_cbranch_scc1 .LBB6_999
.LBB6_1000:                             ;   in Loop: Header=BB6_972 Depth=1
	s_mov_b32 s16, 0
	s_mov_b64 s[14:15], s[4:5]
	s_branch .LBB6_1002
.LBB6_1001:                             ;   in Loop: Header=BB6_972 Depth=1
	s_mov_b32 s16, -1
                                        ; implicit-def: $vgpr14_vgpr15
.LBB6_1002:                             ;   in Loop: Header=BB6_972 Depth=1
	s_andn2_b32 vcc_lo, exec_lo, s16
	s_mov_b32 s19, 0
	s_cbranch_vccnz .LBB6_1004
; %bb.1003:                             ;   in Loop: Header=BB6_972 Depth=1
	global_load_dwordx2 v[14:15], v3, s[4:5]
	s_add_i32 s19, s18, -8
.LBB6_1004:                             ;   in Loop: Header=BB6_972 Depth=1
	s_add_u32 s4, s14, 8
	s_addc_u32 s5, s15, 0
	s_cmp_gt_u32 s19, 7
	s_cbranch_scc1 .LBB6_1009
; %bb.1005:                             ;   in Loop: Header=BB6_972 Depth=1
	v_mov_b32_e32 v16, 0
	v_mov_b32_e32 v17, 0
	s_cmp_eq_u32 s19, 0
	s_cbranch_scc1 .LBB6_1008
; %bb.1006:                             ;   in Loop: Header=BB6_972 Depth=1
	s_mov_b64 s[4:5], 0
	s_mov_b64 s[16:17], 0
.LBB6_1007:                             ;   Parent Loop BB6_972 Depth=1
                                        ; =>  This Inner Loop Header: Depth=2
	s_add_u32 s24, s14, s16
	s_addc_u32 s25, s15, s17
	s_add_u32 s16, s16, 1
	global_load_ubyte v2, v3, s[24:25]
	s_addc_u32 s17, s17, 0
	s_waitcnt vmcnt(0)
	v_and_b32_e32 v2, 0xffff, v2
	v_lshlrev_b64 v[18:19], s4, v[2:3]
	s_add_u32 s4, s4, 8
	s_addc_u32 s5, s5, 0
	s_cmp_lg_u32 s19, s16
	v_or_b32_e32 v16, v18, v16
	v_or_b32_e32 v17, v19, v17
	s_cbranch_scc1 .LBB6_1007
.LBB6_1008:                             ;   in Loop: Header=BB6_972 Depth=1
	s_mov_b32 s16, 0
	s_mov_b64 s[4:5], s[14:15]
	s_branch .LBB6_1010
.LBB6_1009:                             ;   in Loop: Header=BB6_972 Depth=1
	s_mov_b32 s16, -1
.LBB6_1010:                             ;   in Loop: Header=BB6_972 Depth=1
	s_andn2_b32 vcc_lo, exec_lo, s16
	s_mov_b32 s18, 0
	s_cbranch_vccnz .LBB6_1012
; %bb.1011:                             ;   in Loop: Header=BB6_972 Depth=1
	global_load_dwordx2 v[16:17], v3, s[14:15]
	s_add_i32 s18, s19, -8
.LBB6_1012:                             ;   in Loop: Header=BB6_972 Depth=1
	s_add_u32 s14, s4, 8
	s_addc_u32 s15, s5, 0
	s_cmp_gt_u32 s18, 7
	s_cbranch_scc1 .LBB6_1017
; %bb.1013:                             ;   in Loop: Header=BB6_972 Depth=1
	v_mov_b32_e32 v18, 0
	v_mov_b32_e32 v19, 0
	s_cmp_eq_u32 s18, 0
	s_cbranch_scc1 .LBB6_1016
; %bb.1014:                             ;   in Loop: Header=BB6_972 Depth=1
	s_mov_b64 s[14:15], 0
	s_mov_b64 s[16:17], 0
.LBB6_1015:                             ;   Parent Loop BB6_972 Depth=1
                                        ; =>  This Inner Loop Header: Depth=2
	s_add_u32 s24, s4, s16
	s_addc_u32 s25, s5, s17
	s_add_u32 s16, s16, 1
	global_load_ubyte v2, v3, s[24:25]
	s_addc_u32 s17, s17, 0
	s_waitcnt vmcnt(0)
	v_and_b32_e32 v2, 0xffff, v2
	v_lshlrev_b64 v[20:21], s14, v[2:3]
	s_add_u32 s14, s14, 8
	s_addc_u32 s15, s15, 0
	s_cmp_lg_u32 s18, s16
	v_or_b32_e32 v18, v20, v18
	v_or_b32_e32 v19, v21, v19
	s_cbranch_scc1 .LBB6_1015
.LBB6_1016:                             ;   in Loop: Header=BB6_972 Depth=1
	s_mov_b32 s16, 0
	s_mov_b64 s[14:15], s[4:5]
	s_branch .LBB6_1018
.LBB6_1017:                             ;   in Loop: Header=BB6_972 Depth=1
	s_mov_b32 s16, -1
                                        ; implicit-def: $vgpr18_vgpr19
.LBB6_1018:                             ;   in Loop: Header=BB6_972 Depth=1
	s_andn2_b32 vcc_lo, exec_lo, s16
	s_mov_b32 s19, 0
	s_cbranch_vccnz .LBB6_1020
; %bb.1019:                             ;   in Loop: Header=BB6_972 Depth=1
	global_load_dwordx2 v[18:19], v3, s[4:5]
	s_add_i32 s19, s18, -8
.LBB6_1020:                             ;   in Loop: Header=BB6_972 Depth=1
	s_cmp_gt_u32 s19, 7
	s_cbranch_scc1 .LBB6_1025
; %bb.1021:                             ;   in Loop: Header=BB6_972 Depth=1
	v_mov_b32_e32 v20, 0
	v_mov_b32_e32 v21, 0
	s_cmp_eq_u32 s19, 0
	s_cbranch_scc1 .LBB6_1024
; %bb.1022:                             ;   in Loop: Header=BB6_972 Depth=1
	s_mov_b64 s[4:5], 0
	s_mov_b64 s[16:17], s[14:15]
.LBB6_1023:                             ;   Parent Loop BB6_972 Depth=1
                                        ; =>  This Inner Loop Header: Depth=2
	global_load_ubyte v2, v3, s[16:17]
	s_add_i32 s19, s19, -1
	s_waitcnt vmcnt(0)
	v_and_b32_e32 v2, 0xffff, v2
	v_lshlrev_b64 v[22:23], s4, v[2:3]
	s_add_u32 s4, s4, 8
	s_addc_u32 s5, s5, 0
	s_add_u32 s16, s16, 1
	s_addc_u32 s17, s17, 0
	s_cmp_lg_u32 s19, 0
	v_or_b32_e32 v20, v22, v20
	v_or_b32_e32 v21, v23, v21
	s_cbranch_scc1 .LBB6_1023
.LBB6_1024:                             ;   in Loop: Header=BB6_972 Depth=1
	s_mov_b32 s4, 0
	s_branch .LBB6_1026
.LBB6_1025:                             ;   in Loop: Header=BB6_972 Depth=1
	s_mov_b32 s4, -1
.LBB6_1026:                             ;   in Loop: Header=BB6_972 Depth=1
	s_andn2_b32 vcc_lo, exec_lo, s4
	s_cbranch_vccnz .LBB6_1028
; %bb.1027:                             ;   in Loop: Header=BB6_972 Depth=1
	global_load_dwordx2 v[20:21], v3, s[14:15]
.LBB6_1028:                             ;   in Loop: Header=BB6_972 Depth=1
	v_readfirstlane_b32 s4, v29
	v_mov_b32_e32 v26, 0
	v_mov_b32_e32 v27, 0
	v_cmp_eq_u32_e64 s4, s4, v29
	s_and_saveexec_b32 s5, s4
	s_cbranch_execz .LBB6_1034
; %bb.1029:                             ;   in Loop: Header=BB6_972 Depth=1
	global_load_dwordx2 v[24:25], v3, s[6:7] offset:24 glc dlc
	s_waitcnt vmcnt(0)
	buffer_gl1_inv
	buffer_gl0_inv
	s_clause 0x1
	global_load_dwordx2 v[22:23], v3, s[6:7] offset:40
	global_load_dwordx2 v[26:27], v3, s[6:7]
	s_mov_b32 s14, exec_lo
	s_waitcnt vmcnt(1)
	v_and_b32_e32 v2, v23, v25
	v_and_b32_e32 v22, v22, v24
	v_mul_lo_u32 v2, v2, 24
	v_mul_hi_u32 v23, v22, 24
	v_mul_lo_u32 v22, v22, 24
	v_add_nc_u32_e32 v2, v23, v2
	s_waitcnt vmcnt(0)
	v_add_co_u32 v22, vcc_lo, v26, v22
	v_add_co_ci_u32_e64 v23, null, v27, v2, vcc_lo
	global_load_dwordx2 v[22:23], v[22:23], off glc dlc
	s_waitcnt vmcnt(0)
	global_atomic_cmpswap_x2 v[26:27], v3, v[22:25], s[6:7] offset:24 glc
	s_waitcnt vmcnt(0)
	buffer_gl1_inv
	buffer_gl0_inv
	v_cmpx_ne_u64_e64 v[26:27], v[24:25]
	s_cbranch_execz .LBB6_1033
; %bb.1030:                             ;   in Loop: Header=BB6_972 Depth=1
	s_mov_b32 s15, 0
.LBB6_1031:                             ;   Parent Loop BB6_972 Depth=1
                                        ; =>  This Inner Loop Header: Depth=2
	s_sleep 1
	s_clause 0x1
	global_load_dwordx2 v[22:23], v3, s[6:7] offset:40
	global_load_dwordx2 v[30:31], v3, s[6:7]
	v_mov_b32_e32 v24, v26
	v_mov_b32_e32 v25, v27
	s_waitcnt vmcnt(1)
	v_and_b32_e32 v2, v22, v24
	v_and_b32_e32 v22, v23, v25
	s_waitcnt vmcnt(0)
	v_mad_u64_u32 v[26:27], null, v2, 24, v[30:31]
	v_mov_b32_e32 v2, v27
	v_mad_u64_u32 v[22:23], null, v22, 24, v[2:3]
	v_mov_b32_e32 v27, v22
	global_load_dwordx2 v[22:23], v[26:27], off glc dlc
	s_waitcnt vmcnt(0)
	global_atomic_cmpswap_x2 v[26:27], v3, v[22:25], s[6:7] offset:24 glc
	s_waitcnt vmcnt(0)
	buffer_gl1_inv
	buffer_gl0_inv
	v_cmp_eq_u64_e32 vcc_lo, v[26:27], v[24:25]
	s_or_b32 s15, vcc_lo, s15
	s_andn2_b32 exec_lo, exec_lo, s15
	s_cbranch_execnz .LBB6_1031
; %bb.1032:                             ;   in Loop: Header=BB6_972 Depth=1
	s_or_b32 exec_lo, exec_lo, s15
.LBB6_1033:                             ;   in Loop: Header=BB6_972 Depth=1
	s_or_b32 exec_lo, exec_lo, s14
.LBB6_1034:                             ;   in Loop: Header=BB6_972 Depth=1
	s_or_b32 exec_lo, exec_lo, s5
	s_clause 0x1
	global_load_dwordx2 v[30:31], v3, s[6:7] offset:40
	global_load_dwordx4 v[22:25], v3, s[6:7]
	v_readfirstlane_b32 s15, v27
	v_readfirstlane_b32 s14, v26
	s_mov_b32 s5, exec_lo
	s_waitcnt vmcnt(1)
	v_readfirstlane_b32 s16, v30
	v_readfirstlane_b32 s17, v31
	s_and_b64 s[16:17], s[16:17], s[14:15]
	s_mul_i32 s18, s17, 24
	s_mul_hi_u32 s19, s16, 24
	s_mul_i32 s20, s16, 24
	s_add_i32 s19, s19, s18
	s_waitcnt vmcnt(0)
	v_add_co_u32 v26, vcc_lo, v22, s20
	v_add_co_ci_u32_e64 v27, null, s19, v23, vcc_lo
	s_and_saveexec_b32 s18, s4
	s_cbranch_execz .LBB6_1036
; %bb.1035:                             ;   in Loop: Header=BB6_972 Depth=1
	v_mov_b32_e32 v2, s5
	global_store_dwordx4 v[26:27], v[2:5], off offset:8
.LBB6_1036:                             ;   in Loop: Header=BB6_972 Depth=1
	s_or_b32 exec_lo, exec_lo, s18
	v_cmp_gt_u64_e64 s5, s[10:11], 56
	s_lshl_b64 s[16:17], s[16:17], 12
	v_and_b32_e32 v2, 0xffffff1f, v6
	v_add_co_u32 v24, vcc_lo, v24, s16
	v_add_co_ci_u32_e64 v25, null, s17, v25, vcc_lo
	s_and_b32 s5, s5, exec_lo
	s_cselect_b32 s5, 0, 2
	s_lshl_b32 s18, s12, 2
	v_or_b32_e32 v2, s5, v2
	v_readfirstlane_b32 s16, v24
	v_readfirstlane_b32 s17, v25
	s_add_i32 s18, s18, 28
	v_and_or_b32 v6, 0x1e0, s18, v2
	global_store_dwordx4 v28, v[10:13], s[16:17] offset:16
	global_store_dwordx4 v28, v[14:17], s[16:17] offset:32
	global_store_dwordx4 v28, v[6:9], s[16:17]
	global_store_dwordx4 v28, v[18:21], s[16:17] offset:48
	s_and_saveexec_b32 s5, s4
	s_cbranch_execz .LBB6_1044
; %bb.1037:                             ;   in Loop: Header=BB6_972 Depth=1
	s_clause 0x1
	global_load_dwordx2 v[14:15], v3, s[6:7] offset:32 glc dlc
	global_load_dwordx2 v[6:7], v3, s[6:7] offset:40
	v_mov_b32_e32 v12, s14
	v_mov_b32_e32 v13, s15
	s_waitcnt vmcnt(0)
	v_readfirstlane_b32 s16, v6
	v_readfirstlane_b32 s17, v7
	s_and_b64 s[16:17], s[16:17], s[14:15]
	s_mul_i32 s17, s17, 24
	s_mul_hi_u32 s18, s16, 24
	s_mul_i32 s16, s16, 24
	s_add_i32 s18, s18, s17
	v_add_co_u32 v10, vcc_lo, v22, s16
	v_add_co_ci_u32_e64 v11, null, s18, v23, vcc_lo
	s_mov_b32 s16, exec_lo
	global_store_dwordx2 v[10:11], v[14:15], off
	s_waitcnt_vscnt null, 0x0
	global_atomic_cmpswap_x2 v[8:9], v3, v[12:15], s[6:7] offset:32 glc
	s_waitcnt vmcnt(0)
	v_cmpx_ne_u64_e64 v[8:9], v[14:15]
	s_cbranch_execz .LBB6_1040
; %bb.1038:                             ;   in Loop: Header=BB6_972 Depth=1
	s_mov_b32 s17, 0
.LBB6_1039:                             ;   Parent Loop BB6_972 Depth=1
                                        ; =>  This Inner Loop Header: Depth=2
	v_mov_b32_e32 v6, s14
	v_mov_b32_e32 v7, s15
	s_sleep 1
	global_store_dwordx2 v[10:11], v[8:9], off
	s_waitcnt_vscnt null, 0x0
	global_atomic_cmpswap_x2 v[6:7], v3, v[6:9], s[6:7] offset:32 glc
	s_waitcnt vmcnt(0)
	v_cmp_eq_u64_e32 vcc_lo, v[6:7], v[8:9]
	v_mov_b32_e32 v9, v7
	v_mov_b32_e32 v8, v6
	s_or_b32 s17, vcc_lo, s17
	s_andn2_b32 exec_lo, exec_lo, s17
	s_cbranch_execnz .LBB6_1039
.LBB6_1040:                             ;   in Loop: Header=BB6_972 Depth=1
	s_or_b32 exec_lo, exec_lo, s16
	global_load_dwordx2 v[6:7], v3, s[6:7] offset:16
	s_mov_b32 s17, exec_lo
	s_mov_b32 s16, exec_lo
	v_mbcnt_lo_u32_b32 v2, s17, 0
	v_cmpx_eq_u32_e32 0, v2
	s_cbranch_execz .LBB6_1042
; %bb.1041:                             ;   in Loop: Header=BB6_972 Depth=1
	s_bcnt1_i32_b32 s17, s17
	v_mov_b32_e32 v2, s17
	s_waitcnt vmcnt(0)
	global_atomic_add_x2 v[6:7], v[2:3], off offset:8
.LBB6_1042:                             ;   in Loop: Header=BB6_972 Depth=1
	s_or_b32 exec_lo, exec_lo, s16
	s_waitcnt vmcnt(0)
	global_load_dwordx2 v[8:9], v[6:7], off offset:16
	s_waitcnt vmcnt(0)
	v_cmp_eq_u64_e32 vcc_lo, 0, v[8:9]
	s_cbranch_vccnz .LBB6_1044
; %bb.1043:                             ;   in Loop: Header=BB6_972 Depth=1
	global_load_dword v2, v[6:7], off offset:24
	s_waitcnt vmcnt(0)
	v_readfirstlane_b32 s16, v2
	s_waitcnt_vscnt null, 0x0
	global_store_dwordx2 v[8:9], v[2:3], off
	s_and_b32 m0, s16, 0x7fffff
	s_sendmsg sendmsg(MSG_INTERRUPT)
.LBB6_1044:                             ;   in Loop: Header=BB6_972 Depth=1
	s_or_b32 exec_lo, exec_lo, s5
	v_add_co_u32 v6, vcc_lo, v24, v28
	v_add_co_ci_u32_e64 v7, null, 0, v25, vcc_lo
	s_branch .LBB6_1048
.LBB6_1045:                             ;   in Loop: Header=BB6_1048 Depth=2
	s_or_b32 exec_lo, exec_lo, s5
	v_readfirstlane_b32 s5, v2
	s_cmp_eq_u32 s5, 0
	s_cbranch_scc1 .LBB6_1047
; %bb.1046:                             ;   in Loop: Header=BB6_1048 Depth=2
	s_sleep 1
	s_cbranch_execnz .LBB6_1048
	s_branch .LBB6_1050
.LBB6_1047:                             ;   in Loop: Header=BB6_972 Depth=1
	s_branch .LBB6_1050
.LBB6_1048:                             ;   Parent Loop BB6_972 Depth=1
                                        ; =>  This Inner Loop Header: Depth=2
	v_mov_b32_e32 v2, 1
	s_and_saveexec_b32 s5, s4
	s_cbranch_execz .LBB6_1045
; %bb.1049:                             ;   in Loop: Header=BB6_1048 Depth=2
	global_load_dword v2, v[26:27], off offset:20 glc dlc
	s_waitcnt vmcnt(0)
	buffer_gl1_inv
	buffer_gl0_inv
	v_and_b32_e32 v2, 1, v2
	s_branch .LBB6_1045
.LBB6_1050:                             ;   in Loop: Header=BB6_972 Depth=1
	global_load_dwordx4 v[6:9], v[6:7], off
	s_and_saveexec_b32 s16, s4
	s_cbranch_execz .LBB6_971
; %bb.1051:                             ;   in Loop: Header=BB6_972 Depth=1
	s_clause 0x2
	global_load_dwordx2 v[8:9], v3, s[6:7] offset:40
	global_load_dwordx2 v[16:17], v3, s[6:7] offset:24 glc dlc
	global_load_dwordx2 v[10:11], v3, s[6:7]
	s_waitcnt vmcnt(2)
	v_readfirstlane_b32 s18, v8
	v_readfirstlane_b32 s19, v9
	s_add_u32 s17, s18, 1
	s_addc_u32 s20, s19, 0
	s_add_u32 s4, s17, s14
	s_addc_u32 s5, s20, s15
	s_cmp_eq_u64 s[4:5], 0
	s_cselect_b32 s5, s20, s5
	s_cselect_b32 s4, s17, s4
	v_mov_b32_e32 v15, s5
	s_and_b64 s[14:15], s[4:5], s[18:19]
	v_mov_b32_e32 v14, s4
	s_mul_i32 s15, s15, 24
	s_mul_hi_u32 s17, s14, 24
	s_mul_i32 s14, s14, 24
	s_add_i32 s17, s17, s15
	s_waitcnt vmcnt(0)
	v_add_co_u32 v12, vcc_lo, v10, s14
	v_add_co_ci_u32_e64 v13, null, s17, v11, vcc_lo
	global_store_dwordx2 v[12:13], v[16:17], off
	s_waitcnt_vscnt null, 0x0
	global_atomic_cmpswap_x2 v[10:11], v3, v[14:17], s[6:7] offset:24 glc
	s_waitcnt vmcnt(0)
	v_cmp_ne_u64_e32 vcc_lo, v[10:11], v[16:17]
	s_and_b32 exec_lo, exec_lo, vcc_lo
	s_cbranch_execz .LBB6_971
; %bb.1052:                             ;   in Loop: Header=BB6_972 Depth=1
	s_mov_b32 s14, 0
.LBB6_1053:                             ;   Parent Loop BB6_972 Depth=1
                                        ; =>  This Inner Loop Header: Depth=2
	v_mov_b32_e32 v8, s4
	v_mov_b32_e32 v9, s5
	s_sleep 1
	global_store_dwordx2 v[12:13], v[10:11], off
	s_waitcnt_vscnt null, 0x0
	global_atomic_cmpswap_x2 v[8:9], v3, v[8:11], s[6:7] offset:24 glc
	s_waitcnt vmcnt(0)
	v_cmp_eq_u64_e32 vcc_lo, v[8:9], v[10:11]
	v_mov_b32_e32 v11, v9
	v_mov_b32_e32 v10, v8
	s_or_b32 s14, vcc_lo, s14
	s_andn2_b32 exec_lo, exec_lo, s14
	s_cbranch_execnz .LBB6_1053
	s_branch .LBB6_971
.LBB6_1054:
	s_mov_b32 s4, 0
	s_branch .LBB6_1056
.LBB6_1055:
	s_mov_b32 s4, -1
.LBB6_1056:
	s_and_b32 vcc_lo, exec_lo, s4
	s_cbranch_vccz .LBB6_1084
; %bb.1057:
	v_readfirstlane_b32 s4, v29
	s_waitcnt vmcnt(0)
	v_mov_b32_e32 v8, 0
	v_mov_b32_e32 v9, 0
	v_cmp_eq_u32_e64 s4, s4, v29
	s_and_saveexec_b32 s5, s4
	s_cbranch_execz .LBB6_1063
; %bb.1058:
	v_mov_b32_e32 v2, 0
	s_mov_b32 s8, exec_lo
	global_load_dwordx2 v[5:6], v2, s[6:7] offset:24 glc dlc
	s_waitcnt vmcnt(0)
	buffer_gl1_inv
	buffer_gl0_inv
	s_clause 0x1
	global_load_dwordx2 v[3:4], v2, s[6:7] offset:40
	global_load_dwordx2 v[7:8], v2, s[6:7]
	s_waitcnt vmcnt(1)
	v_and_b32_e32 v4, v4, v6
	v_and_b32_e32 v3, v3, v5
	v_mul_lo_u32 v4, v4, 24
	v_mul_hi_u32 v9, v3, 24
	v_mul_lo_u32 v3, v3, 24
	v_add_nc_u32_e32 v4, v9, v4
	s_waitcnt vmcnt(0)
	v_add_co_u32 v3, vcc_lo, v7, v3
	v_add_co_ci_u32_e64 v4, null, v8, v4, vcc_lo
	global_load_dwordx2 v[3:4], v[3:4], off glc dlc
	s_waitcnt vmcnt(0)
	global_atomic_cmpswap_x2 v[8:9], v2, v[3:6], s[6:7] offset:24 glc
	s_waitcnt vmcnt(0)
	buffer_gl1_inv
	buffer_gl0_inv
	v_cmpx_ne_u64_e64 v[8:9], v[5:6]
	s_cbranch_execz .LBB6_1062
; %bb.1059:
	s_mov_b32 s9, 0
.LBB6_1060:                             ; =>This Inner Loop Header: Depth=1
	s_sleep 1
	s_clause 0x1
	global_load_dwordx2 v[3:4], v2, s[6:7] offset:40
	global_load_dwordx2 v[10:11], v2, s[6:7]
	v_mov_b32_e32 v5, v8
	v_mov_b32_e32 v6, v9
	s_waitcnt vmcnt(1)
	v_and_b32_e32 v3, v3, v5
	v_and_b32_e32 v4, v4, v6
	s_waitcnt vmcnt(0)
	v_mad_u64_u32 v[7:8], null, v3, 24, v[10:11]
	v_mov_b32_e32 v3, v8
	v_mad_u64_u32 v[3:4], null, v4, 24, v[3:4]
	v_mov_b32_e32 v8, v3
	global_load_dwordx2 v[3:4], v[7:8], off glc dlc
	s_waitcnt vmcnt(0)
	global_atomic_cmpswap_x2 v[8:9], v2, v[3:6], s[6:7] offset:24 glc
	s_waitcnt vmcnt(0)
	buffer_gl1_inv
	buffer_gl0_inv
	v_cmp_eq_u64_e32 vcc_lo, v[8:9], v[5:6]
	s_or_b32 s9, vcc_lo, s9
	s_andn2_b32 exec_lo, exec_lo, s9
	s_cbranch_execnz .LBB6_1060
; %bb.1061:
	s_or_b32 exec_lo, exec_lo, s9
.LBB6_1062:
	s_or_b32 exec_lo, exec_lo, s8
.LBB6_1063:
	s_or_b32 exec_lo, exec_lo, s5
	v_mov_b32_e32 v2, 0
	v_readfirstlane_b32 s9, v9
	v_readfirstlane_b32 s8, v8
	s_mov_b32 s5, exec_lo
	s_clause 0x1
	global_load_dwordx2 v[10:11], v2, s[6:7] offset:40
	global_load_dwordx4 v[4:7], v2, s[6:7]
	s_waitcnt vmcnt(1)
	v_readfirstlane_b32 s10, v10
	v_readfirstlane_b32 s11, v11
	s_and_b64 s[10:11], s[10:11], s[8:9]
	s_mul_i32 s12, s11, 24
	s_mul_hi_u32 s13, s10, 24
	s_mul_i32 s14, s10, 24
	s_add_i32 s13, s13, s12
	s_waitcnt vmcnt(0)
	v_add_co_u32 v8, vcc_lo, v4, s14
	v_add_co_ci_u32_e64 v9, null, s13, v5, vcc_lo
	s_and_saveexec_b32 s12, s4
	s_cbranch_execz .LBB6_1065
; %bb.1064:
	v_mov_b32_e32 v10, s5
	v_mov_b32_e32 v11, v2
	;; [unrolled: 1-line block ×4, first 2 shown]
	global_store_dwordx4 v[8:9], v[10:13], off offset:8
.LBB6_1065:
	s_or_b32 exec_lo, exec_lo, s12
	s_lshl_b64 s[10:11], s[10:11], 12
	s_mov_b32 s12, 0
	v_add_co_u32 v6, vcc_lo, v6, s10
	v_add_co_ci_u32_e64 v7, null, s11, v7, vcc_lo
	s_mov_b32 s13, s12
	s_mov_b32 s14, s12
	s_mov_b32 s15, s12
	v_and_or_b32 v0, 0xffffff1d, v0, 34
	v_mov_b32_e32 v3, v2
	v_readfirstlane_b32 s10, v6
	v_readfirstlane_b32 s11, v7
	v_mov_b32_e32 v10, s12
	v_mov_b32_e32 v11, s13
	;; [unrolled: 1-line block ×4, first 2 shown]
	global_store_dwordx4 v28, v[0:3], s[10:11]
	global_store_dwordx4 v28, v[10:13], s[10:11] offset:16
	global_store_dwordx4 v28, v[10:13], s[10:11] offset:32
	;; [unrolled: 1-line block ×3, first 2 shown]
	s_and_saveexec_b32 s5, s4
	s_cbranch_execz .LBB6_1073
; %bb.1066:
	v_mov_b32_e32 v6, 0
	v_mov_b32_e32 v10, s8
	v_mov_b32_e32 v11, s9
	s_clause 0x1
	global_load_dwordx2 v[12:13], v6, s[6:7] offset:32 glc dlc
	global_load_dwordx2 v[0:1], v6, s[6:7] offset:40
	s_waitcnt vmcnt(0)
	v_readfirstlane_b32 s10, v0
	v_readfirstlane_b32 s11, v1
	s_and_b64 s[10:11], s[10:11], s[8:9]
	s_mul_i32 s11, s11, 24
	s_mul_hi_u32 s12, s10, 24
	s_mul_i32 s10, s10, 24
	s_add_i32 s12, s12, s11
	v_add_co_u32 v4, vcc_lo, v4, s10
	v_add_co_ci_u32_e64 v5, null, s12, v5, vcc_lo
	s_mov_b32 s10, exec_lo
	global_store_dwordx2 v[4:5], v[12:13], off
	s_waitcnt_vscnt null, 0x0
	global_atomic_cmpswap_x2 v[2:3], v6, v[10:13], s[6:7] offset:32 glc
	s_waitcnt vmcnt(0)
	v_cmpx_ne_u64_e64 v[2:3], v[12:13]
	s_cbranch_execz .LBB6_1069
; %bb.1067:
	s_mov_b32 s11, 0
.LBB6_1068:                             ; =>This Inner Loop Header: Depth=1
	v_mov_b32_e32 v0, s8
	v_mov_b32_e32 v1, s9
	s_sleep 1
	global_store_dwordx2 v[4:5], v[2:3], off
	s_waitcnt_vscnt null, 0x0
	global_atomic_cmpswap_x2 v[0:1], v6, v[0:3], s[6:7] offset:32 glc
	s_waitcnt vmcnt(0)
	v_cmp_eq_u64_e32 vcc_lo, v[0:1], v[2:3]
	v_mov_b32_e32 v3, v1
	v_mov_b32_e32 v2, v0
	s_or_b32 s11, vcc_lo, s11
	s_andn2_b32 exec_lo, exec_lo, s11
	s_cbranch_execnz .LBB6_1068
.LBB6_1069:
	s_or_b32 exec_lo, exec_lo, s10
	v_mov_b32_e32 v3, 0
	s_mov_b32 s11, exec_lo
	s_mov_b32 s10, exec_lo
	v_mbcnt_lo_u32_b32 v2, s11, 0
	global_load_dwordx2 v[0:1], v3, s[6:7] offset:16
	v_cmpx_eq_u32_e32 0, v2
	s_cbranch_execz .LBB6_1071
; %bb.1070:
	s_bcnt1_i32_b32 s11, s11
	v_mov_b32_e32 v2, s11
	s_waitcnt vmcnt(0)
	global_atomic_add_x2 v[0:1], v[2:3], off offset:8
.LBB6_1071:
	s_or_b32 exec_lo, exec_lo, s10
	s_waitcnt vmcnt(0)
	global_load_dwordx2 v[2:3], v[0:1], off offset:16
	s_waitcnt vmcnt(0)
	v_cmp_eq_u64_e32 vcc_lo, 0, v[2:3]
	s_cbranch_vccnz .LBB6_1073
; %bb.1072:
	global_load_dword v0, v[0:1], off offset:24
	v_mov_b32_e32 v1, 0
	s_waitcnt vmcnt(0)
	v_readfirstlane_b32 s10, v0
	s_waitcnt_vscnt null, 0x0
	global_store_dwordx2 v[2:3], v[0:1], off
	s_and_b32 m0, s10, 0x7fffff
	s_sendmsg sendmsg(MSG_INTERRUPT)
.LBB6_1073:
	s_or_b32 exec_lo, exec_lo, s5
	s_branch .LBB6_1077
.LBB6_1074:                             ;   in Loop: Header=BB6_1077 Depth=1
	s_or_b32 exec_lo, exec_lo, s5
	v_readfirstlane_b32 s5, v0
	s_cmp_eq_u32 s5, 0
	s_cbranch_scc1 .LBB6_1076
; %bb.1075:                             ;   in Loop: Header=BB6_1077 Depth=1
	s_sleep 1
	s_cbranch_execnz .LBB6_1077
	s_branch .LBB6_1079
.LBB6_1076:
	s_branch .LBB6_1079
.LBB6_1077:                             ; =>This Inner Loop Header: Depth=1
	v_mov_b32_e32 v0, 1
	s_and_saveexec_b32 s5, s4
	s_cbranch_execz .LBB6_1074
; %bb.1078:                             ;   in Loop: Header=BB6_1077 Depth=1
	global_load_dword v0, v[8:9], off offset:20 glc dlc
	s_waitcnt vmcnt(0)
	buffer_gl1_inv
	buffer_gl0_inv
	v_and_b32_e32 v0, 1, v0
	s_branch .LBB6_1074
.LBB6_1079:
	s_and_saveexec_b32 s10, s4
	s_cbranch_execz .LBB6_1083
; %bb.1080:
	v_mov_b32_e32 v6, 0
	s_clause 0x2
	global_load_dwordx2 v[0:1], v6, s[6:7] offset:40
	global_load_dwordx2 v[9:10], v6, s[6:7] offset:24 glc dlc
	global_load_dwordx2 v[2:3], v6, s[6:7]
	s_waitcnt vmcnt(2)
	v_readfirstlane_b32 s12, v0
	v_readfirstlane_b32 s13, v1
	s_add_u32 s11, s12, 1
	s_addc_u32 s14, s13, 0
	s_add_u32 s4, s11, s8
	s_addc_u32 s5, s14, s9
	s_cmp_eq_u64 s[4:5], 0
	s_cselect_b32 s5, s14, s5
	s_cselect_b32 s4, s11, s4
	v_mov_b32_e32 v8, s5
	s_and_b64 s[8:9], s[4:5], s[12:13]
	v_mov_b32_e32 v7, s4
	s_mul_i32 s9, s9, 24
	s_mul_hi_u32 s11, s8, 24
	s_mul_i32 s8, s8, 24
	s_add_i32 s11, s11, s9
	s_waitcnt vmcnt(0)
	v_add_co_u32 v4, vcc_lo, v2, s8
	v_add_co_ci_u32_e64 v5, null, s11, v3, vcc_lo
	global_store_dwordx2 v[4:5], v[9:10], off
	s_waitcnt_vscnt null, 0x0
	global_atomic_cmpswap_x2 v[2:3], v6, v[7:10], s[6:7] offset:24 glc
	s_waitcnt vmcnt(0)
	v_cmp_ne_u64_e32 vcc_lo, v[2:3], v[9:10]
	s_and_b32 exec_lo, exec_lo, vcc_lo
	s_cbranch_execz .LBB6_1083
; %bb.1081:
	s_mov_b32 s8, 0
.LBB6_1082:                             ; =>This Inner Loop Header: Depth=1
	v_mov_b32_e32 v0, s4
	v_mov_b32_e32 v1, s5
	s_sleep 1
	global_store_dwordx2 v[4:5], v[2:3], off
	s_waitcnt_vscnt null, 0x0
	global_atomic_cmpswap_x2 v[0:1], v6, v[0:3], s[6:7] offset:24 glc
	s_waitcnt vmcnt(0)
	v_cmp_eq_u64_e32 vcc_lo, v[0:1], v[2:3]
	v_mov_b32_e32 v3, v1
	v_mov_b32_e32 v2, v0
	s_or_b32 s8, vcc_lo, s8
	s_andn2_b32 exec_lo, exec_lo, s8
	s_cbranch_execnz .LBB6_1082
.LBB6_1083:
	s_or_b32 exec_lo, exec_lo, s10
.LBB6_1084:
	s_getpc_b64 s[4:5]
	s_add_u32 s4, s4, .str.29@rel32@lo+4
	s_addc_u32 s5, s5, .str.29@rel32@hi+12
	s_getpc_b64 s[6:7]
	s_add_u32 s6, s6, .str.19@rel32@lo+4
	s_addc_u32 s7, s7, .str.19@rel32@hi+12
	s_getpc_b64 s[8:9]
	s_add_u32 s8, s8, __PRETTY_FUNCTION__._ZN7VecsMemIjLi8192EE5fetchEi@rel32@lo+4
	s_addc_u32 s9, s9, __PRETTY_FUNCTION__._ZN7VecsMemIjLi8192EE5fetchEi@rel32@hi+12
	s_waitcnt vmcnt(0)
	v_mov_b32_e32 v0, s4
	v_mov_b32_e32 v1, s5
	;; [unrolled: 1-line block ×7, first 2 shown]
	s_getpc_b64 s[10:11]
	s_add_u32 s10, s10, __assert_fail@rel32@lo+4
	s_addc_u32 s11, s11, __assert_fail@rel32@hi+12
	s_mov_b64 s[8:9], s[52:53]
	s_swappc_b64 s[30:31], s[10:11]
	s_or_b32 s4, s67, exec_lo
.LBB6_1085:
	s_or_b32 exec_lo, exec_lo, s23
	s_andn2_b32 s5, s67, exec_lo
	s_and_b32 s4, s4, exec_lo
	s_or_b32 s69, s5, s4
	s_orn2_b32 s4, s21, exec_lo
.LBB6_1086:
	s_or_b32 exec_lo, exec_lo, s22
	s_mov_b32 s5, 0
                                        ; implicit-def: $vgpr41
	s_and_saveexec_b32 s70, s4
	s_cbranch_execz .LBB6_1309
; %bb.1087:
	s_mov_b32 s6, 0
	s_mov_b32 s4, -1
	s_mov_b32 s5, exec_lo
	buffer_store_dword v70, off, s[0:3], s33 offset:68
	buffer_store_dword v69, off, s[0:3], s33 offset:64
	v_cmpx_lt_i32_e32 0, v68
	s_cbranch_execz .LBB6_1095
; %bb.1088:
	v_not_b32_e32 v4, v71
	v_mov_b32_e32 v0, 0
	v_mov_b32_e32 v5, 0
	s_mov_b32 s7, 0
	s_inst_prefetch 0x1
	s_branch .LBB6_1090
.LBB6_1089:                             ;   in Loop: Header=BB6_1090 Depth=1
	s_or_b32 exec_lo, exec_lo, s4
	v_ashrrev_i32_e32 v1, 31, v0
	s_add_i32 s7, s7, 1
	v_add_co_u32 v54, s4, v54, 4
	v_add_co_ci_u32_e64 v55, null, 0, v55, s4
	v_lshlrev_b64 v[0:1], 2, v[0:1]
	v_add_co_u32 v0, vcc_lo, v2, v0
	v_add_co_ci_u32_e64 v1, null, v3, v1, vcc_lo
	flat_store_dword v[0:1], v7
	flat_load_dword v0, v[52:53] offset:4
	s_waitcnt vmcnt(0) lgkmcnt(0)
	v_cmp_ge_i32_e32 vcc_lo, s7, v0
	v_mov_b32_e32 v0, v6
	s_or_b32 s6, vcc_lo, s6
	s_andn2_b32 exec_lo, exec_lo, s6
	s_cbranch_execz .LBB6_1094
.LBB6_1090:                             ; =>This Inner Loop Header: Depth=1
	flat_load_dword v7, v[54:55]
	s_mov_b32 s4, exec_lo
                                        ; implicit-def: $vgpr6
	s_waitcnt vmcnt(0) lgkmcnt(0)
	v_and_b32_e32 v1, v7, v71
	v_cmpx_ne_u32_e32 0, v1
	s_xor_b32 s4, exec_lo, s4
	s_cbranch_execz .LBB6_1092
; %bb.1091:                             ;   in Loop: Header=BB6_1090 Depth=1
	v_add_nc_u32_e32 v6, 1, v0
	v_and_b32_e32 v7, v7, v4
	buffer_store_dword v6, off, s[0:3], s33 offset:44
.LBB6_1092:                             ;   in Loop: Header=BB6_1090 Depth=1
	s_or_saveexec_b32 s4, s4
	v_mov_b32_e32 v2, v66
	v_mov_b32_e32 v8, v5
	;; [unrolled: 1-line block ×3, first 2 shown]
	s_xor_b32 exec_lo, exec_lo, s4
	s_cbranch_execz .LBB6_1089
; %bb.1093:                             ;   in Loop: Header=BB6_1090 Depth=1
	v_add_nc_u32_e32 v8, 1, v5
	v_mov_b32_e32 v2, v69
	v_mov_b32_e32 v6, v0
	;; [unrolled: 1-line block ×5, first 2 shown]
	buffer_store_dword v8, off, s[0:3], s33 offset:60
	s_branch .LBB6_1089
.LBB6_1094:
	s_inst_prefetch 0x2
	s_or_b32 exec_lo, exec_lo, s6
	v_cmp_eq_u32_e32 vcc_lo, 0, v8
	s_orn2_b32 s4, vcc_lo, exec_lo
.LBB6_1095:
	s_or_b32 exec_lo, exec_lo, s5
	flat_load_dword v0, v[64:65] offset:4
	v_mov_b32_e32 v1, 0
	v_mov_b32_e32 v2, v47
	;; [unrolled: 1-line block ×4, first 2 shown]
	s_xor_b32 s71, s4, -1
	s_getpc_b64 s[4:5]
	s_add_u32 s4, s4, _ZN3sop23sopFactorTrivialCubeRecEjiiPN8subgUtil4SubgILi256EEE@rel32@lo+4
	s_addc_u32 s5, s5, _ZN3sop23sopFactorTrivialCubeRecEjiiPN8subgUtil4SubgILi256EEE@rel32@hi+12
	s_mov_b64 s[8:9], s[52:53]
	s_mov_b64 s[80:81], src_private_base
	s_swappc_b64 s[30:31], s[4:5]
	v_mov_b32_e32 v40, v0
	v_lshrrev_b32_e64 v0, 5, s33
	v_mov_b32_e32 v1, s81
	v_mov_b32_e32 v2, v47
	;; [unrolled: 1-line block ×4, first 2 shown]
	v_add_nc_u32_e32 v0, 40, v0
	v_mov_b32_e32 v5, v42
	v_mov_b32_e32 v6, v43
	s_getpc_b64 s[4:5]
	s_add_u32 s4, s4, _ZN3sop12sopFactorRecEPNS_3SopEiP7VecsMemIjLi8192EEPN8subgUtil4SubgILi256EEE@rel32@lo+4
	s_addc_u32 s5, s5, _ZN3sop12sopFactorRecEPNS_3SopEiP7VecsMemIjLi8192EEPN8subgUtil4SubgILi256EEE@rel32@hi+12
	s_mov_b64 s[8:9], s[52:53]
	s_swappc_b64 s[30:31], s[4:5]
	flat_load_dword v1, v[42:43]
	s_mov_b32 s34, s69
	s_mov_b32 s4, exec_lo
	s_waitcnt vmcnt(0) lgkmcnt(0)
	v_cmpx_lt_i32_e32 0xff, v1
	s_xor_b32 s21, exec_lo, s4
	s_cbranch_execz .LBB6_1097
; %bb.1096:
	s_getpc_b64 s[4:5]
	s_add_u32 s4, s4, .str.43@rel32@lo+4
	s_addc_u32 s5, s5, .str.43@rel32@hi+12
	s_getpc_b64 s[6:7]
	s_add_u32 s6, s6, .str.44@rel32@lo+4
	s_addc_u32 s7, s7, .str.44@rel32@hi+12
	s_getpc_b64 s[8:9]
	s_add_u32 s8, s8, __PRETTY_FUNCTION__._ZN8subgUtil4SubgILi256EE10addNodeAndEii@rel32@lo+4
	s_addc_u32 s9, s9, __PRETTY_FUNCTION__._ZN8subgUtil4SubgILi256EE10addNodeAndEii@rel32@hi+12
	v_mov_b32_e32 v0, s4
	v_mov_b32_e32 v1, s5
	;; [unrolled: 1-line block ×7, first 2 shown]
	s_getpc_b64 s[10:11]
	s_add_u32 s10, s10, __assert_fail@rel32@lo+4
	s_addc_u32 s11, s11, __assert_fail@rel32@hi+12
	s_mov_b64 s[8:9], s[52:53]
	s_swappc_b64 s[30:31], s[10:11]
	s_or_b32 s34, s69, exec_lo
                                        ; implicit-def: $vgpr1
                                        ; implicit-def: $vgpr40
                                        ; implicit-def: $vgpr0
                                        ; implicit-def: $vgpr42_vgpr43
                                        ; implicit-def: $vgpr44
                                        ; implicit-def: $vgpr47
.LBB6_1097:
	s_or_saveexec_b32 s35, s21
	s_mov_b32 s4, 0
                                        ; implicit-def: $vgpr41
	s_xor_b32 exec_lo, exec_lo, s35
	s_cbranch_execz .LBB6_1308
; %bb.1098:
	v_or_b32_e32 v2, v0, v40
	s_mov_b32 s4, -1
	s_mov_b32 s21, 0
	s_mov_b32 s22, s34
                                        ; implicit-def: $vgpr41
	s_mov_b32 s5, exec_lo
	v_cmpx_lt_i32_e32 -1, v2
	s_xor_b32 s36, exec_lo, s5
	s_cbranch_execz .LBB6_1305
; %bb.1099:
	v_ashrrev_i32_e32 v2, 31, v1
	v_max_i32_e32 v4, v40, v0
	v_min_i32_e32 v5, v40, v0
	v_add_nc_u32_e32 v0, 1, v1
	v_lshlrev_b32_e32 v41, 1, v1
	v_lshlrev_b64 v[2:3], 3, v[1:2]
	v_lshlrev_b32_e32 v4, 1, v4
	s_mov_b32 s5, s34
	flat_store_dword v[42:43], v0
	v_add_co_u32 v2, vcc_lo, v42, v2
	v_add_co_ci_u32_e64 v3, null, v43, v3, vcc_lo
	flat_store_dwordx2 v[2:3], v[4:5] offset:8
	s_and_saveexec_b32 s37, s71
	s_cbranch_execz .LBB6_1302
; %bb.1100:
	v_lshrrev_b32_e64 v0, 5, s33
	s_mov_b64 s[4:5], src_private_base
	v_mov_b32_e32 v2, v47
	v_mov_b32_e32 v1, s5
	;; [unrolled: 1-line block ×3, first 2 shown]
	v_add_nc_u32_e32 v0, 56, v0
	v_mov_b32_e32 v4, v45
	v_mov_b32_e32 v5, v42
	v_mov_b32_e32 v6, v43
	s_getpc_b64 s[6:7]
	s_add_u32 s6, s6, _ZN3sop12sopFactorRecEPNS_3SopEiP7VecsMemIjLi8192EEPN8subgUtil4SubgILi256EEE@rel32@lo+4
	s_addc_u32 s7, s7, _ZN3sop12sopFactorRecEPNS_3SopEiP7VecsMemIjLi8192EEPN8subgUtil4SubgILi256EEE@rel32@hi+12
	s_mov_b64 s[8:9], s[52:53]
	s_swappc_b64 s[30:31], s[6:7]
	flat_load_dword v1, v[42:43]
	s_mov_b32 s21, s34
	s_mov_b32 s4, exec_lo
	s_waitcnt vmcnt(0) lgkmcnt(0)
	v_cmpx_lt_i32_e32 0xff, v1
	s_xor_b32 s22, exec_lo, s4
	s_cbranch_execz .LBB6_1102
; %bb.1101:
	s_getpc_b64 s[4:5]
	s_add_u32 s4, s4, .str.43@rel32@lo+4
	s_addc_u32 s5, s5, .str.43@rel32@hi+12
	s_getpc_b64 s[6:7]
	s_add_u32 s6, s6, .str.44@rel32@lo+4
	s_addc_u32 s7, s7, .str.44@rel32@hi+12
	s_getpc_b64 s[8:9]
	s_add_u32 s8, s8, __PRETTY_FUNCTION__._ZN8subgUtil4SubgILi256EE9addNodeOrEii@rel32@lo+4
	s_addc_u32 s9, s9, __PRETTY_FUNCTION__._ZN8subgUtil4SubgILi256EE9addNodeOrEii@rel32@hi+12
	v_mov_b32_e32 v0, s4
	v_mov_b32_e32 v1, s5
	;; [unrolled: 1-line block ×7, first 2 shown]
	s_getpc_b64 s[10:11]
	s_add_u32 s10, s10, __assert_fail@rel32@lo+4
	s_addc_u32 s11, s11, __assert_fail@rel32@hi+12
	s_mov_b64 s[8:9], s[52:53]
	s_swappc_b64 s[30:31], s[10:11]
	s_or_b32 s21, s34, exec_lo
                                        ; implicit-def: $vgpr0
                                        ; implicit-def: $vgpr41
                                        ; implicit-def: $vgpr42_vgpr43
.LBB6_1102:
	s_or_saveexec_b32 s22, s22
	s_mov_b32 s4, 0
	s_xor_b32 exec_lo, exec_lo, s22
	s_cbranch_execz .LBB6_1301
; %bb.1103:
	v_min_i32_e32 v34, v41, v0
	v_max_i32_e32 v3, v41, v0
	v_xor_b32_e32 v30, 1, v34
	v_xor_b32_e32 v31, 1, v3
	v_cmp_gt_i32_e64 s4, v30, v31
	s_and_saveexec_b32 s20, s4
	s_cbranch_execz .LBB6_1296
; %bb.1104:
	s_load_dwordx2 s[6:7], s[52:53], 0x50
	v_mbcnt_lo_u32_b32 v33, -1, 0
	v_mov_b32_e32 v1, 0
	v_mov_b32_e32 v2, 0
	v_readfirstlane_b32 s5, v33
	v_cmp_eq_u32_e64 s5, s5, v33
	s_and_saveexec_b32 s8, s5
	s_cbranch_execz .LBB6_1110
; %bb.1105:
	v_mov_b32_e32 v4, 0
	s_mov_b32 s9, exec_lo
	s_waitcnt lgkmcnt(0)
	global_load_dwordx2 v[7:8], v4, s[6:7] offset:24 glc dlc
	s_waitcnt vmcnt(0)
	buffer_gl1_inv
	buffer_gl0_inv
	s_clause 0x1
	global_load_dwordx2 v[1:2], v4, s[6:7] offset:40
	global_load_dwordx2 v[5:6], v4, s[6:7]
	s_waitcnt vmcnt(1)
	v_and_b32_e32 v2, v2, v8
	v_and_b32_e32 v1, v1, v7
	v_mul_lo_u32 v2, v2, 24
	v_mul_hi_u32 v9, v1, 24
	v_mul_lo_u32 v1, v1, 24
	v_add_nc_u32_e32 v2, v9, v2
	s_waitcnt vmcnt(0)
	v_add_co_u32 v1, vcc_lo, v5, v1
	v_add_co_ci_u32_e64 v2, null, v6, v2, vcc_lo
	global_load_dwordx2 v[5:6], v[1:2], off glc dlc
	s_waitcnt vmcnt(0)
	global_atomic_cmpswap_x2 v[1:2], v4, v[5:8], s[6:7] offset:24 glc
	s_waitcnt vmcnt(0)
	buffer_gl1_inv
	buffer_gl0_inv
	v_cmpx_ne_u64_e64 v[1:2], v[7:8]
	s_cbranch_execz .LBB6_1109
; %bb.1106:
	s_mov_b32 s10, 0
.LBB6_1107:                             ; =>This Inner Loop Header: Depth=1
	s_sleep 1
	s_clause 0x1
	global_load_dwordx2 v[5:6], v4, s[6:7] offset:40
	global_load_dwordx2 v[9:10], v4, s[6:7]
	v_mov_b32_e32 v8, v2
	v_mov_b32_e32 v7, v1
	s_waitcnt vmcnt(1)
	v_and_b32_e32 v1, v5, v7
	v_and_b32_e32 v5, v6, v8
	s_waitcnt vmcnt(0)
	v_mad_u64_u32 v[1:2], null, v1, 24, v[9:10]
	v_mad_u64_u32 v[5:6], null, v5, 24, v[2:3]
	v_mov_b32_e32 v2, v5
	global_load_dwordx2 v[5:6], v[1:2], off glc dlc
	s_waitcnt vmcnt(0)
	global_atomic_cmpswap_x2 v[1:2], v4, v[5:8], s[6:7] offset:24 glc
	s_waitcnt vmcnt(0)
	buffer_gl1_inv
	buffer_gl0_inv
	v_cmp_eq_u64_e32 vcc_lo, v[1:2], v[7:8]
	s_or_b32 s10, vcc_lo, s10
	s_andn2_b32 exec_lo, exec_lo, s10
	s_cbranch_execnz .LBB6_1107
; %bb.1108:
	s_or_b32 exec_lo, exec_lo, s10
.LBB6_1109:
	s_or_b32 exec_lo, exec_lo, s9
.LBB6_1110:
	s_or_b32 exec_lo, exec_lo, s8
	v_mov_b32_e32 v9, 0
	v_readfirstlane_b32 s9, v2
	v_readfirstlane_b32 s8, v1
	s_mov_b32 s12, exec_lo
	s_waitcnt lgkmcnt(0)
	s_clause 0x1
	global_load_dwordx2 v[10:11], v9, s[6:7] offset:40
	global_load_dwordx4 v[4:7], v9, s[6:7]
	s_waitcnt vmcnt(1)
	v_readfirstlane_b32 s10, v10
	v_readfirstlane_b32 s11, v11
	s_and_b64 s[10:11], s[10:11], s[8:9]
	s_mul_i32 s13, s11, 24
	s_mul_hi_u32 s14, s10, 24
	s_mul_i32 s15, s10, 24
	s_add_i32 s14, s14, s13
	s_waitcnt vmcnt(0)
	v_add_co_u32 v1, vcc_lo, v4, s15
	v_add_co_ci_u32_e64 v2, null, s14, v5, vcc_lo
	s_and_saveexec_b32 s13, s5
	s_cbranch_execz .LBB6_1112
; %bb.1111:
	v_mov_b32_e32 v8, s12
	v_mov_b32_e32 v10, 2
	;; [unrolled: 1-line block ×3, first 2 shown]
	global_store_dwordx4 v[1:2], v[8:11], off offset:8
.LBB6_1112:
	s_or_b32 exec_lo, exec_lo, s13
	s_lshl_b64 s[10:11], s[10:11], 12
	v_lshlrev_b32_e32 v32, 6, v33
	v_add_co_u32 v6, vcc_lo, v6, s10
	v_add_co_ci_u32_e64 v7, null, s11, v7, vcc_lo
	s_mov_b32 s12, 0
	v_add_co_u32 v12, vcc_lo, v6, v32
	s_mov_b32 s15, s12
	s_mov_b32 s13, s12
	;; [unrolled: 1-line block ×3, first 2 shown]
	v_mov_b32_e32 v8, 33
	v_mov_b32_e32 v10, v9
	;; [unrolled: 1-line block ×3, first 2 shown]
	v_readfirstlane_b32 s10, v6
	v_readfirstlane_b32 s11, v7
	v_mov_b32_e32 v17, s15
	v_add_co_ci_u32_e64 v13, null, 0, v7, vcc_lo
	v_mov_b32_e32 v16, s14
	v_mov_b32_e32 v15, s13
	;; [unrolled: 1-line block ×3, first 2 shown]
	global_store_dwordx4 v32, v[8:11], s[10:11]
	global_store_dwordx4 v32, v[14:17], s[10:11] offset:16
	global_store_dwordx4 v32, v[14:17], s[10:11] offset:32
	;; [unrolled: 1-line block ×3, first 2 shown]
	s_and_saveexec_b32 s10, s5
	s_cbranch_execz .LBB6_1119
; %bb.1113:
	v_mov_b32_e32 v10, 0
	v_mov_b32_e32 v14, s8
	;; [unrolled: 1-line block ×3, first 2 shown]
	s_mov_b32 s11, exec_lo
	s_clause 0x1
	global_load_dwordx2 v[16:17], v10, s[6:7] offset:32 glc dlc
	global_load_dwordx2 v[6:7], v10, s[6:7] offset:40
	s_waitcnt vmcnt(0)
	v_and_b32_e32 v7, s9, v7
	v_and_b32_e32 v6, s8, v6
	v_mul_lo_u32 v7, v7, 24
	v_mul_hi_u32 v8, v6, 24
	v_mul_lo_u32 v6, v6, 24
	v_add_nc_u32_e32 v7, v8, v7
	v_add_co_u32 v8, vcc_lo, v4, v6
	v_add_co_ci_u32_e64 v9, null, v5, v7, vcc_lo
	global_store_dwordx2 v[8:9], v[16:17], off
	s_waitcnt_vscnt null, 0x0
	global_atomic_cmpswap_x2 v[6:7], v10, v[14:17], s[6:7] offset:32 glc
	s_waitcnt vmcnt(0)
	v_cmpx_ne_u64_e64 v[6:7], v[16:17]
	s_cbranch_execz .LBB6_1115
.LBB6_1114:                             ; =>This Inner Loop Header: Depth=1
	v_mov_b32_e32 v4, s8
	v_mov_b32_e32 v5, s9
	s_sleep 1
	global_store_dwordx2 v[8:9], v[6:7], off
	s_waitcnt_vscnt null, 0x0
	global_atomic_cmpswap_x2 v[4:5], v10, v[4:7], s[6:7] offset:32 glc
	s_waitcnt vmcnt(0)
	v_cmp_eq_u64_e32 vcc_lo, v[4:5], v[6:7]
	v_mov_b32_e32 v7, v5
	v_mov_b32_e32 v6, v4
	s_or_b32 s12, vcc_lo, s12
	s_andn2_b32 exec_lo, exec_lo, s12
	s_cbranch_execnz .LBB6_1114
.LBB6_1115:
	s_or_b32 exec_lo, exec_lo, s11
	v_mov_b32_e32 v7, 0
	s_mov_b32 s12, exec_lo
	s_mov_b32 s11, exec_lo
	v_mbcnt_lo_u32_b32 v6, s12, 0
	global_load_dwordx2 v[4:5], v7, s[6:7] offset:16
	v_cmpx_eq_u32_e32 0, v6
	s_cbranch_execz .LBB6_1117
; %bb.1116:
	s_bcnt1_i32_b32 s12, s12
	v_mov_b32_e32 v6, s12
	s_waitcnt vmcnt(0)
	global_atomic_add_x2 v[4:5], v[6:7], off offset:8
.LBB6_1117:
	s_or_b32 exec_lo, exec_lo, s11
	s_waitcnt vmcnt(0)
	global_load_dwordx2 v[6:7], v[4:5], off offset:16
	s_waitcnt vmcnt(0)
	v_cmp_eq_u64_e32 vcc_lo, 0, v[6:7]
	s_cbranch_vccnz .LBB6_1119
; %bb.1118:
	global_load_dword v4, v[4:5], off offset:24
	v_mov_b32_e32 v5, 0
	s_waitcnt vmcnt(0)
	v_readfirstlane_b32 s11, v4
	s_waitcnt_vscnt null, 0x0
	global_store_dwordx2 v[6:7], v[4:5], off
	s_and_b32 m0, s11, 0x7fffff
	s_sendmsg sendmsg(MSG_INTERRUPT)
.LBB6_1119:
	s_or_b32 exec_lo, exec_lo, s10
	s_branch .LBB6_1123
.LBB6_1120:                             ;   in Loop: Header=BB6_1123 Depth=1
	s_or_b32 exec_lo, exec_lo, s10
	v_readfirstlane_b32 s10, v4
	s_cmp_eq_u32 s10, 0
	s_cbranch_scc1 .LBB6_1122
; %bb.1121:                             ;   in Loop: Header=BB6_1123 Depth=1
	s_sleep 1
	s_cbranch_execnz .LBB6_1123
	s_branch .LBB6_1125
.LBB6_1122:
	s_branch .LBB6_1125
.LBB6_1123:                             ; =>This Inner Loop Header: Depth=1
	v_mov_b32_e32 v4, 1
	s_and_saveexec_b32 s10, s5
	s_cbranch_execz .LBB6_1120
; %bb.1124:                             ;   in Loop: Header=BB6_1123 Depth=1
	global_load_dword v4, v[1:2], off offset:20 glc dlc
	s_waitcnt vmcnt(0)
	buffer_gl1_inv
	buffer_gl0_inv
	v_and_b32_e32 v4, 1, v4
	s_branch .LBB6_1120
.LBB6_1125:
	global_load_dwordx2 v[4:5], v[12:13], off
	s_and_saveexec_b32 s10, s5
	s_cbranch_execz .LBB6_1129
; %bb.1126:
	v_mov_b32_e32 v10, 0
	s_clause 0x2
	global_load_dwordx2 v[1:2], v10, s[6:7] offset:40
	global_load_dwordx2 v[13:14], v10, s[6:7] offset:24 glc dlc
	global_load_dwordx2 v[6:7], v10, s[6:7]
	s_waitcnt vmcnt(2)
	v_readfirstlane_b32 s12, v1
	v_readfirstlane_b32 s13, v2
	s_add_u32 s5, s12, 1
	s_addc_u32 s11, s13, 0
	s_add_u32 s8, s5, s8
	s_addc_u32 s9, s11, s9
	s_cmp_eq_u64 s[8:9], 0
	s_cselect_b32 s9, s11, s9
	s_cselect_b32 s8, s5, s8
	v_mov_b32_e32 v12, s9
	s_and_b64 s[12:13], s[8:9], s[12:13]
	v_mov_b32_e32 v11, s8
	s_mul_i32 s5, s13, 24
	s_mul_hi_u32 s11, s12, 24
	s_mul_i32 s12, s12, 24
	s_add_i32 s11, s11, s5
	s_waitcnt vmcnt(0)
	v_add_co_u32 v1, vcc_lo, v6, s12
	v_add_co_ci_u32_e64 v2, null, s11, v7, vcc_lo
	global_store_dwordx2 v[1:2], v[13:14], off
	s_waitcnt_vscnt null, 0x0
	global_atomic_cmpswap_x2 v[8:9], v10, v[11:14], s[6:7] offset:24 glc
	s_waitcnt vmcnt(0)
	v_cmp_ne_u64_e32 vcc_lo, v[8:9], v[13:14]
	s_and_b32 exec_lo, exec_lo, vcc_lo
	s_cbranch_execz .LBB6_1129
; %bb.1127:
	s_mov_b32 s5, 0
.LBB6_1128:                             ; =>This Inner Loop Header: Depth=1
	v_mov_b32_e32 v6, s8
	v_mov_b32_e32 v7, s9
	s_sleep 1
	global_store_dwordx2 v[1:2], v[8:9], off
	s_waitcnt_vscnt null, 0x0
	global_atomic_cmpswap_x2 v[6:7], v10, v[6:9], s[6:7] offset:24 glc
	s_waitcnt vmcnt(0)
	v_cmp_eq_u64_e32 vcc_lo, v[6:7], v[8:9]
	v_mov_b32_e32 v9, v7
	v_mov_b32_e32 v8, v6
	s_or_b32 s5, vcc_lo, s5
	s_andn2_b32 exec_lo, exec_lo, s5
	s_cbranch_execnz .LBB6_1128
.LBB6_1129:
	s_or_b32 exec_lo, exec_lo, s10
	s_getpc_b64 s[8:9]
	s_add_u32 s8, s8, .str.45@rel32@lo+4
	s_addc_u32 s9, s9, .str.45@rel32@hi+12
	s_cmp_lg_u64 s[8:9], 0
	s_cbranch_scc0 .LBB6_1215
; %bb.1130:
	s_waitcnt vmcnt(0)
	v_and_b32_e32 v35, 2, v4
	v_mov_b32_e32 v11, 0
	v_and_b32_e32 v6, -3, v4
	v_mov_b32_e32 v7, v5
	v_mov_b32_e32 v12, 2
	v_mov_b32_e32 v13, 1
	s_mov_b64 s[10:11], 7
	s_branch .LBB6_1132
.LBB6_1131:                             ;   in Loop: Header=BB6_1132 Depth=1
	s_or_b32 exec_lo, exec_lo, s16
	s_sub_u32 s10, s10, s12
	s_subb_u32 s11, s11, s13
	s_add_u32 s8, s8, s12
	s_addc_u32 s9, s9, s13
	s_cmp_lg_u64 s[10:11], 0
	s_cbranch_scc0 .LBB6_1214
.LBB6_1132:                             ; =>This Loop Header: Depth=1
                                        ;     Child Loop BB6_1135 Depth 2
                                        ;     Child Loop BB6_1143 Depth 2
	;; [unrolled: 1-line block ×11, first 2 shown]
	v_cmp_lt_u64_e64 s5, s[10:11], 56
	v_cmp_gt_u64_e64 s16, s[10:11], 7
	s_and_b32 s5, s5, exec_lo
	s_cselect_b32 s13, s11, 0
	s_cselect_b32 s12, s10, 56
	s_add_u32 s14, s8, 8
	s_addc_u32 s15, s9, 0
	s_and_b32 vcc_lo, exec_lo, s16
	s_cbranch_vccnz .LBB6_1137
; %bb.1133:                             ;   in Loop: Header=BB6_1132 Depth=1
	v_mov_b32_e32 v8, 0
	v_mov_b32_e32 v9, 0
	s_cmp_eq_u64 s[10:11], 0
	s_cbranch_scc1 .LBB6_1136
; %bb.1134:                             ;   in Loop: Header=BB6_1132 Depth=1
	s_lshl_b64 s[14:15], s[12:13], 3
	s_mov_b64 s[16:17], 0
	s_mov_b64 s[18:19], s[8:9]
.LBB6_1135:                             ;   Parent Loop BB6_1132 Depth=1
                                        ; =>  This Inner Loop Header: Depth=2
	global_load_ubyte v1, v11, s[18:19]
	s_waitcnt vmcnt(0)
	v_and_b32_e32 v10, 0xffff, v1
	v_lshlrev_b64 v[1:2], s16, v[10:11]
	s_add_u32 s16, s16, 8
	s_addc_u32 s17, s17, 0
	s_add_u32 s18, s18, 1
	s_addc_u32 s19, s19, 0
	s_cmp_lg_u32 s14, s16
	v_or_b32_e32 v8, v1, v8
	v_or_b32_e32 v9, v2, v9
	s_cbranch_scc1 .LBB6_1135
.LBB6_1136:                             ;   in Loop: Header=BB6_1132 Depth=1
	s_mov_b32 s5, 0
	s_mov_b64 s[14:15], s[8:9]
	s_branch .LBB6_1138
.LBB6_1137:                             ;   in Loop: Header=BB6_1132 Depth=1
	s_mov_b32 s5, -1
.LBB6_1138:                             ;   in Loop: Header=BB6_1132 Depth=1
	s_andn2_b32 vcc_lo, exec_lo, s5
	s_mov_b32 s5, 0
	s_cbranch_vccnz .LBB6_1140
; %bb.1139:                             ;   in Loop: Header=BB6_1132 Depth=1
	global_load_dwordx2 v[8:9], v11, s[8:9]
	s_add_i32 s5, s12, -8
.LBB6_1140:                             ;   in Loop: Header=BB6_1132 Depth=1
	s_add_u32 s16, s14, 8
	s_addc_u32 s17, s15, 0
	s_cmp_gt_u32 s5, 7
	s_cbranch_scc1 .LBB6_1145
; %bb.1141:                             ;   in Loop: Header=BB6_1132 Depth=1
	v_mov_b32_e32 v14, 0
	v_mov_b32_e32 v15, 0
	s_cmp_eq_u32 s5, 0
	s_cbranch_scc1 .LBB6_1144
; %bb.1142:                             ;   in Loop: Header=BB6_1132 Depth=1
	s_mov_b64 s[16:17], 0
	s_mov_b64 s[18:19], 0
.LBB6_1143:                             ;   Parent Loop BB6_1132 Depth=1
                                        ; =>  This Inner Loop Header: Depth=2
	s_add_u32 s24, s14, s18
	s_addc_u32 s25, s15, s19
	s_add_u32 s18, s18, 1
	global_load_ubyte v1, v11, s[24:25]
	s_addc_u32 s19, s19, 0
	s_waitcnt vmcnt(0)
	v_and_b32_e32 v10, 0xffff, v1
	v_lshlrev_b64 v[1:2], s16, v[10:11]
	s_add_u32 s16, s16, 8
	s_addc_u32 s17, s17, 0
	s_cmp_lg_u32 s5, s18
	v_or_b32_e32 v14, v1, v14
	v_or_b32_e32 v15, v2, v15
	s_cbranch_scc1 .LBB6_1143
.LBB6_1144:                             ;   in Loop: Header=BB6_1132 Depth=1
	s_mov_b32 s18, 0
	s_mov_b64 s[16:17], s[14:15]
	s_branch .LBB6_1146
.LBB6_1145:                             ;   in Loop: Header=BB6_1132 Depth=1
	s_mov_b32 s18, -1
                                        ; implicit-def: $vgpr14_vgpr15
.LBB6_1146:                             ;   in Loop: Header=BB6_1132 Depth=1
	s_andn2_b32 vcc_lo, exec_lo, s18
	s_mov_b32 s23, 0
	s_cbranch_vccnz .LBB6_1148
; %bb.1147:                             ;   in Loop: Header=BB6_1132 Depth=1
	global_load_dwordx2 v[14:15], v11, s[14:15]
	s_add_i32 s23, s5, -8
.LBB6_1148:                             ;   in Loop: Header=BB6_1132 Depth=1
	s_add_u32 s14, s16, 8
	s_addc_u32 s15, s17, 0
	s_cmp_gt_u32 s23, 7
	s_cbranch_scc1 .LBB6_1153
; %bb.1149:                             ;   in Loop: Header=BB6_1132 Depth=1
	v_mov_b32_e32 v16, 0
	v_mov_b32_e32 v17, 0
	s_cmp_eq_u32 s23, 0
	s_cbranch_scc1 .LBB6_1152
; %bb.1150:                             ;   in Loop: Header=BB6_1132 Depth=1
	s_mov_b64 s[14:15], 0
	s_mov_b64 s[18:19], 0
.LBB6_1151:                             ;   Parent Loop BB6_1132 Depth=1
                                        ; =>  This Inner Loop Header: Depth=2
	s_add_u32 s24, s16, s18
	s_addc_u32 s25, s17, s19
	s_add_u32 s18, s18, 1
	global_load_ubyte v1, v11, s[24:25]
	s_addc_u32 s19, s19, 0
	s_waitcnt vmcnt(0)
	v_and_b32_e32 v10, 0xffff, v1
	v_lshlrev_b64 v[1:2], s14, v[10:11]
	s_add_u32 s14, s14, 8
	s_addc_u32 s15, s15, 0
	s_cmp_lg_u32 s23, s18
	v_or_b32_e32 v16, v1, v16
	v_or_b32_e32 v17, v2, v17
	s_cbranch_scc1 .LBB6_1151
.LBB6_1152:                             ;   in Loop: Header=BB6_1132 Depth=1
	s_mov_b32 s5, 0
	s_mov_b64 s[14:15], s[16:17]
	s_branch .LBB6_1154
.LBB6_1153:                             ;   in Loop: Header=BB6_1132 Depth=1
	s_mov_b32 s5, -1
.LBB6_1154:                             ;   in Loop: Header=BB6_1132 Depth=1
	s_andn2_b32 vcc_lo, exec_lo, s5
	s_mov_b32 s5, 0
	s_cbranch_vccnz .LBB6_1156
; %bb.1155:                             ;   in Loop: Header=BB6_1132 Depth=1
	global_load_dwordx2 v[16:17], v11, s[16:17]
	s_add_i32 s5, s23, -8
.LBB6_1156:                             ;   in Loop: Header=BB6_1132 Depth=1
	s_add_u32 s16, s14, 8
	s_addc_u32 s17, s15, 0
	s_cmp_gt_u32 s5, 7
	s_cbranch_scc1 .LBB6_1161
; %bb.1157:                             ;   in Loop: Header=BB6_1132 Depth=1
	v_mov_b32_e32 v18, 0
	v_mov_b32_e32 v19, 0
	s_cmp_eq_u32 s5, 0
	s_cbranch_scc1 .LBB6_1160
; %bb.1158:                             ;   in Loop: Header=BB6_1132 Depth=1
	s_mov_b64 s[16:17], 0
	s_mov_b64 s[18:19], 0
.LBB6_1159:                             ;   Parent Loop BB6_1132 Depth=1
                                        ; =>  This Inner Loop Header: Depth=2
	s_add_u32 s24, s14, s18
	s_addc_u32 s25, s15, s19
	s_add_u32 s18, s18, 1
	global_load_ubyte v1, v11, s[24:25]
	s_addc_u32 s19, s19, 0
	s_waitcnt vmcnt(0)
	v_and_b32_e32 v10, 0xffff, v1
	v_lshlrev_b64 v[1:2], s16, v[10:11]
	s_add_u32 s16, s16, 8
	s_addc_u32 s17, s17, 0
	s_cmp_lg_u32 s5, s18
	v_or_b32_e32 v18, v1, v18
	v_or_b32_e32 v19, v2, v19
	s_cbranch_scc1 .LBB6_1159
.LBB6_1160:                             ;   in Loop: Header=BB6_1132 Depth=1
	s_mov_b32 s18, 0
	s_mov_b64 s[16:17], s[14:15]
	s_branch .LBB6_1162
.LBB6_1161:                             ;   in Loop: Header=BB6_1132 Depth=1
	s_mov_b32 s18, -1
                                        ; implicit-def: $vgpr18_vgpr19
.LBB6_1162:                             ;   in Loop: Header=BB6_1132 Depth=1
	s_andn2_b32 vcc_lo, exec_lo, s18
	s_mov_b32 s23, 0
	s_cbranch_vccnz .LBB6_1164
; %bb.1163:                             ;   in Loop: Header=BB6_1132 Depth=1
	global_load_dwordx2 v[18:19], v11, s[14:15]
	s_add_i32 s23, s5, -8
.LBB6_1164:                             ;   in Loop: Header=BB6_1132 Depth=1
	s_add_u32 s14, s16, 8
	s_addc_u32 s15, s17, 0
	s_cmp_gt_u32 s23, 7
	s_cbranch_scc1 .LBB6_1169
; %bb.1165:                             ;   in Loop: Header=BB6_1132 Depth=1
	v_mov_b32_e32 v20, 0
	v_mov_b32_e32 v21, 0
	s_cmp_eq_u32 s23, 0
	s_cbranch_scc1 .LBB6_1168
; %bb.1166:                             ;   in Loop: Header=BB6_1132 Depth=1
	s_mov_b64 s[14:15], 0
	s_mov_b64 s[18:19], 0
.LBB6_1167:                             ;   Parent Loop BB6_1132 Depth=1
                                        ; =>  This Inner Loop Header: Depth=2
	s_add_u32 s24, s16, s18
	s_addc_u32 s25, s17, s19
	s_add_u32 s18, s18, 1
	global_load_ubyte v1, v11, s[24:25]
	s_addc_u32 s19, s19, 0
	s_waitcnt vmcnt(0)
	v_and_b32_e32 v10, 0xffff, v1
	v_lshlrev_b64 v[1:2], s14, v[10:11]
	s_add_u32 s14, s14, 8
	s_addc_u32 s15, s15, 0
	s_cmp_lg_u32 s23, s18
	v_or_b32_e32 v20, v1, v20
	v_or_b32_e32 v21, v2, v21
	s_cbranch_scc1 .LBB6_1167
.LBB6_1168:                             ;   in Loop: Header=BB6_1132 Depth=1
	s_mov_b32 s5, 0
	s_mov_b64 s[14:15], s[16:17]
	s_branch .LBB6_1170
.LBB6_1169:                             ;   in Loop: Header=BB6_1132 Depth=1
	s_mov_b32 s5, -1
.LBB6_1170:                             ;   in Loop: Header=BB6_1132 Depth=1
	s_andn2_b32 vcc_lo, exec_lo, s5
	s_mov_b32 s5, 0
	s_cbranch_vccnz .LBB6_1172
; %bb.1171:                             ;   in Loop: Header=BB6_1132 Depth=1
	global_load_dwordx2 v[20:21], v11, s[16:17]
	s_add_i32 s5, s23, -8
.LBB6_1172:                             ;   in Loop: Header=BB6_1132 Depth=1
	s_add_u32 s16, s14, 8
	s_addc_u32 s17, s15, 0
	s_cmp_gt_u32 s5, 7
	s_cbranch_scc1 .LBB6_1177
; %bb.1173:                             ;   in Loop: Header=BB6_1132 Depth=1
	v_mov_b32_e32 v22, 0
	v_mov_b32_e32 v23, 0
	s_cmp_eq_u32 s5, 0
	s_cbranch_scc1 .LBB6_1176
; %bb.1174:                             ;   in Loop: Header=BB6_1132 Depth=1
	s_mov_b64 s[16:17], 0
	s_mov_b64 s[18:19], 0
.LBB6_1175:                             ;   Parent Loop BB6_1132 Depth=1
                                        ; =>  This Inner Loop Header: Depth=2
	s_add_u32 s24, s14, s18
	s_addc_u32 s25, s15, s19
	s_add_u32 s18, s18, 1
	global_load_ubyte v1, v11, s[24:25]
	s_addc_u32 s19, s19, 0
	s_waitcnt vmcnt(0)
	v_and_b32_e32 v10, 0xffff, v1
	v_lshlrev_b64 v[1:2], s16, v[10:11]
	s_add_u32 s16, s16, 8
	s_addc_u32 s17, s17, 0
	s_cmp_lg_u32 s5, s18
	v_or_b32_e32 v22, v1, v22
	v_or_b32_e32 v23, v2, v23
	s_cbranch_scc1 .LBB6_1175
.LBB6_1176:                             ;   in Loop: Header=BB6_1132 Depth=1
	s_mov_b32 s18, 0
	s_mov_b64 s[16:17], s[14:15]
	s_branch .LBB6_1178
.LBB6_1177:                             ;   in Loop: Header=BB6_1132 Depth=1
	s_mov_b32 s18, -1
                                        ; implicit-def: $vgpr22_vgpr23
.LBB6_1178:                             ;   in Loop: Header=BB6_1132 Depth=1
	s_andn2_b32 vcc_lo, exec_lo, s18
	s_mov_b32 s23, 0
	s_cbranch_vccnz .LBB6_1180
; %bb.1179:                             ;   in Loop: Header=BB6_1132 Depth=1
	global_load_dwordx2 v[22:23], v11, s[14:15]
	s_add_i32 s23, s5, -8
.LBB6_1180:                             ;   in Loop: Header=BB6_1132 Depth=1
	s_cmp_gt_u32 s23, 7
	s_cbranch_scc1 .LBB6_1185
; %bb.1181:                             ;   in Loop: Header=BB6_1132 Depth=1
	v_mov_b32_e32 v24, 0
	v_mov_b32_e32 v25, 0
	s_cmp_eq_u32 s23, 0
	s_cbranch_scc1 .LBB6_1184
; %bb.1182:                             ;   in Loop: Header=BB6_1132 Depth=1
	s_mov_b64 s[14:15], 0
	s_mov_b64 s[18:19], s[16:17]
.LBB6_1183:                             ;   Parent Loop BB6_1132 Depth=1
                                        ; =>  This Inner Loop Header: Depth=2
	global_load_ubyte v1, v11, s[18:19]
	s_add_i32 s23, s23, -1
	s_waitcnt vmcnt(0)
	v_and_b32_e32 v10, 0xffff, v1
	v_lshlrev_b64 v[1:2], s14, v[10:11]
	s_add_u32 s14, s14, 8
	s_addc_u32 s15, s15, 0
	s_add_u32 s18, s18, 1
	s_addc_u32 s19, s19, 0
	s_cmp_lg_u32 s23, 0
	v_or_b32_e32 v24, v1, v24
	v_or_b32_e32 v25, v2, v25
	s_cbranch_scc1 .LBB6_1183
.LBB6_1184:                             ;   in Loop: Header=BB6_1132 Depth=1
	s_mov_b32 s5, 0
	s_branch .LBB6_1186
.LBB6_1185:                             ;   in Loop: Header=BB6_1132 Depth=1
	s_mov_b32 s5, -1
.LBB6_1186:                             ;   in Loop: Header=BB6_1132 Depth=1
	s_andn2_b32 vcc_lo, exec_lo, s5
	s_cbranch_vccnz .LBB6_1188
; %bb.1187:                             ;   in Loop: Header=BB6_1132 Depth=1
	global_load_dwordx2 v[24:25], v11, s[16:17]
.LBB6_1188:                             ;   in Loop: Header=BB6_1132 Depth=1
	v_readfirstlane_b32 s5, v33
	v_mov_b32_e32 v1, 0
	v_mov_b32_e32 v2, 0
	v_cmp_eq_u32_e64 s5, s5, v33
	s_and_saveexec_b32 s14, s5
	s_cbranch_execz .LBB6_1194
; %bb.1189:                             ;   in Loop: Header=BB6_1132 Depth=1
	global_load_dwordx2 v[28:29], v11, s[6:7] offset:24 glc dlc
	s_waitcnt vmcnt(0)
	buffer_gl1_inv
	buffer_gl0_inv
	s_clause 0x1
	global_load_dwordx2 v[1:2], v11, s[6:7] offset:40
	global_load_dwordx2 v[26:27], v11, s[6:7]
	s_mov_b32 s15, exec_lo
	s_waitcnt vmcnt(1)
	v_and_b32_e32 v2, v2, v29
	v_and_b32_e32 v1, v1, v28
	v_mul_lo_u32 v2, v2, 24
	v_mul_hi_u32 v10, v1, 24
	v_mul_lo_u32 v1, v1, 24
	v_add_nc_u32_e32 v2, v10, v2
	s_waitcnt vmcnt(0)
	v_add_co_u32 v1, vcc_lo, v26, v1
	v_add_co_ci_u32_e64 v2, null, v27, v2, vcc_lo
	global_load_dwordx2 v[26:27], v[1:2], off glc dlc
	s_waitcnt vmcnt(0)
	global_atomic_cmpswap_x2 v[1:2], v11, v[26:29], s[6:7] offset:24 glc
	s_waitcnt vmcnt(0)
	buffer_gl1_inv
	buffer_gl0_inv
	v_cmpx_ne_u64_e64 v[1:2], v[28:29]
	s_cbranch_execz .LBB6_1193
; %bb.1190:                             ;   in Loop: Header=BB6_1132 Depth=1
	s_mov_b32 s16, 0
.LBB6_1191:                             ;   Parent Loop BB6_1132 Depth=1
                                        ; =>  This Inner Loop Header: Depth=2
	s_sleep 1
	s_clause 0x1
	global_load_dwordx2 v[26:27], v11, s[6:7] offset:40
	global_load_dwordx2 v[36:37], v11, s[6:7]
	v_mov_b32_e32 v29, v2
	v_mov_b32_e32 v28, v1
	s_waitcnt vmcnt(1)
	v_and_b32_e32 v1, v26, v28
	v_and_b32_e32 v10, v27, v29
	s_waitcnt vmcnt(0)
	v_mad_u64_u32 v[1:2], null, v1, 24, v[36:37]
	v_mad_u64_u32 v[26:27], null, v10, 24, v[2:3]
	v_mov_b32_e32 v2, v26
	global_load_dwordx2 v[26:27], v[1:2], off glc dlc
	s_waitcnt vmcnt(0)
	global_atomic_cmpswap_x2 v[1:2], v11, v[26:29], s[6:7] offset:24 glc
	s_waitcnt vmcnt(0)
	buffer_gl1_inv
	buffer_gl0_inv
	v_cmp_eq_u64_e32 vcc_lo, v[1:2], v[28:29]
	s_or_b32 s16, vcc_lo, s16
	s_andn2_b32 exec_lo, exec_lo, s16
	s_cbranch_execnz .LBB6_1191
; %bb.1192:                             ;   in Loop: Header=BB6_1132 Depth=1
	s_or_b32 exec_lo, exec_lo, s16
.LBB6_1193:                             ;   in Loop: Header=BB6_1132 Depth=1
	s_or_b32 exec_lo, exec_lo, s15
.LBB6_1194:                             ;   in Loop: Header=BB6_1132 Depth=1
	s_or_b32 exec_lo, exec_lo, s14
	s_clause 0x1
	global_load_dwordx2 v[36:37], v11, s[6:7] offset:40
	global_load_dwordx4 v[26:29], v11, s[6:7]
	v_readfirstlane_b32 s15, v2
	v_readfirstlane_b32 s14, v1
	s_mov_b32 s18, exec_lo
	s_waitcnt vmcnt(1)
	v_readfirstlane_b32 s16, v36
	v_readfirstlane_b32 s17, v37
	s_and_b64 s[16:17], s[16:17], s[14:15]
	s_mul_i32 s19, s17, 24
	s_mul_hi_u32 s23, s16, 24
	s_mul_i32 s24, s16, 24
	s_add_i32 s23, s23, s19
	s_waitcnt vmcnt(0)
	v_add_co_u32 v1, vcc_lo, v26, s24
	v_add_co_ci_u32_e64 v2, null, s23, v27, vcc_lo
	s_and_saveexec_b32 s19, s5
	s_cbranch_execz .LBB6_1196
; %bb.1195:                             ;   in Loop: Header=BB6_1132 Depth=1
	v_mov_b32_e32 v10, s18
	global_store_dwordx4 v[1:2], v[10:13], off offset:8
.LBB6_1196:                             ;   in Loop: Header=BB6_1132 Depth=1
	s_or_b32 exec_lo, exec_lo, s19
	v_cmp_lt_u64_e64 vcc_lo, s[10:11], 57
	s_lshl_b64 s[16:17], s[16:17], 12
	v_and_b32_e32 v6, 0xffffff1f, v6
	v_cndmask_b32_e32 v10, 0, v35, vcc_lo
	v_add_co_u32 v28, vcc_lo, v28, s16
	v_add_co_ci_u32_e64 v29, null, s17, v29, vcc_lo
	v_or_b32_e32 v6, v6, v10
	s_lshl_b32 s16, s12, 2
	s_add_i32 s18, s16, 28
	v_readfirstlane_b32 s16, v28
	v_readfirstlane_b32 s17, v29
	v_and_or_b32 v6, 0x1e0, s18, v6
	global_store_dwordx4 v32, v[14:17], s[16:17] offset:16
	global_store_dwordx4 v32, v[6:9], s[16:17]
	global_store_dwordx4 v32, v[18:21], s[16:17] offset:32
	global_store_dwordx4 v32, v[22:25], s[16:17] offset:48
	s_and_saveexec_b32 s16, s5
	s_cbranch_execz .LBB6_1204
; %bb.1197:                             ;   in Loop: Header=BB6_1132 Depth=1
	s_clause 0x1
	global_load_dwordx2 v[18:19], v11, s[6:7] offset:32 glc dlc
	global_load_dwordx2 v[6:7], v11, s[6:7] offset:40
	v_mov_b32_e32 v16, s14
	v_mov_b32_e32 v17, s15
	s_waitcnt vmcnt(0)
	v_readfirstlane_b32 s18, v6
	v_readfirstlane_b32 s19, v7
	s_and_b64 s[18:19], s[18:19], s[14:15]
	s_mul_i32 s17, s19, 24
	s_mul_hi_u32 s19, s18, 24
	s_mul_i32 s18, s18, 24
	s_add_i32 s19, s19, s17
	v_add_co_u32 v14, vcc_lo, v26, s18
	v_add_co_ci_u32_e64 v15, null, s19, v27, vcc_lo
	s_mov_b32 s17, exec_lo
	global_store_dwordx2 v[14:15], v[18:19], off
	s_waitcnt_vscnt null, 0x0
	global_atomic_cmpswap_x2 v[8:9], v11, v[16:19], s[6:7] offset:32 glc
	s_waitcnt vmcnt(0)
	v_cmpx_ne_u64_e64 v[8:9], v[18:19]
	s_cbranch_execz .LBB6_1200
; %bb.1198:                             ;   in Loop: Header=BB6_1132 Depth=1
	s_mov_b32 s18, 0
.LBB6_1199:                             ;   Parent Loop BB6_1132 Depth=1
                                        ; =>  This Inner Loop Header: Depth=2
	v_mov_b32_e32 v6, s14
	v_mov_b32_e32 v7, s15
	s_sleep 1
	global_store_dwordx2 v[14:15], v[8:9], off
	s_waitcnt_vscnt null, 0x0
	global_atomic_cmpswap_x2 v[6:7], v11, v[6:9], s[6:7] offset:32 glc
	s_waitcnt vmcnt(0)
	v_cmp_eq_u64_e32 vcc_lo, v[6:7], v[8:9]
	v_mov_b32_e32 v9, v7
	v_mov_b32_e32 v8, v6
	s_or_b32 s18, vcc_lo, s18
	s_andn2_b32 exec_lo, exec_lo, s18
	s_cbranch_execnz .LBB6_1199
.LBB6_1200:                             ;   in Loop: Header=BB6_1132 Depth=1
	s_or_b32 exec_lo, exec_lo, s17
	global_load_dwordx2 v[6:7], v11, s[6:7] offset:16
	s_mov_b32 s18, exec_lo
	s_mov_b32 s17, exec_lo
	v_mbcnt_lo_u32_b32 v8, s18, 0
	v_cmpx_eq_u32_e32 0, v8
	s_cbranch_execz .LBB6_1202
; %bb.1201:                             ;   in Loop: Header=BB6_1132 Depth=1
	s_bcnt1_i32_b32 s18, s18
	v_mov_b32_e32 v10, s18
	s_waitcnt vmcnt(0)
	global_atomic_add_x2 v[6:7], v[10:11], off offset:8
.LBB6_1202:                             ;   in Loop: Header=BB6_1132 Depth=1
	s_or_b32 exec_lo, exec_lo, s17
	s_waitcnt vmcnt(0)
	global_load_dwordx2 v[8:9], v[6:7], off offset:16
	s_waitcnt vmcnt(0)
	v_cmp_eq_u64_e32 vcc_lo, 0, v[8:9]
	s_cbranch_vccnz .LBB6_1204
; %bb.1203:                             ;   in Loop: Header=BB6_1132 Depth=1
	global_load_dword v10, v[6:7], off offset:24
	s_waitcnt vmcnt(0)
	v_readfirstlane_b32 s17, v10
	s_waitcnt_vscnt null, 0x0
	global_store_dwordx2 v[8:9], v[10:11], off
	s_and_b32 m0, s17, 0x7fffff
	s_sendmsg sendmsg(MSG_INTERRUPT)
.LBB6_1204:                             ;   in Loop: Header=BB6_1132 Depth=1
	s_or_b32 exec_lo, exec_lo, s16
	v_add_co_u32 v6, vcc_lo, v28, v32
	v_add_co_ci_u32_e64 v7, null, 0, v29, vcc_lo
	s_branch .LBB6_1208
.LBB6_1205:                             ;   in Loop: Header=BB6_1208 Depth=2
	s_or_b32 exec_lo, exec_lo, s16
	v_readfirstlane_b32 s16, v8
	s_cmp_eq_u32 s16, 0
	s_cbranch_scc1 .LBB6_1207
; %bb.1206:                             ;   in Loop: Header=BB6_1208 Depth=2
	s_sleep 1
	s_cbranch_execnz .LBB6_1208
	s_branch .LBB6_1210
.LBB6_1207:                             ;   in Loop: Header=BB6_1132 Depth=1
	s_branch .LBB6_1210
.LBB6_1208:                             ;   Parent Loop BB6_1132 Depth=1
                                        ; =>  This Inner Loop Header: Depth=2
	v_mov_b32_e32 v8, 1
	s_and_saveexec_b32 s16, s5
	s_cbranch_execz .LBB6_1205
; %bb.1209:                             ;   in Loop: Header=BB6_1208 Depth=2
	global_load_dword v8, v[1:2], off offset:20 glc dlc
	s_waitcnt vmcnt(0)
	buffer_gl1_inv
	buffer_gl0_inv
	v_and_b32_e32 v8, 1, v8
	s_branch .LBB6_1205
.LBB6_1210:                             ;   in Loop: Header=BB6_1132 Depth=1
	global_load_dwordx2 v[6:7], v[6:7], off
	s_and_saveexec_b32 s16, s5
	s_cbranch_execz .LBB6_1131
; %bb.1211:                             ;   in Loop: Header=BB6_1132 Depth=1
	s_clause 0x2
	global_load_dwordx2 v[1:2], v11, s[6:7] offset:40
	global_load_dwordx2 v[18:19], v11, s[6:7] offset:24 glc dlc
	global_load_dwordx2 v[8:9], v11, s[6:7]
	s_waitcnt vmcnt(2)
	v_readfirstlane_b32 s18, v1
	v_readfirstlane_b32 s19, v2
	s_add_u32 s5, s18, 1
	s_addc_u32 s17, s19, 0
	s_add_u32 s14, s5, s14
	s_addc_u32 s15, s17, s15
	s_cmp_eq_u64 s[14:15], 0
	s_cselect_b32 s15, s17, s15
	s_cselect_b32 s14, s5, s14
	v_mov_b32_e32 v17, s15
	s_and_b64 s[18:19], s[14:15], s[18:19]
	v_mov_b32_e32 v16, s14
	s_mul_i32 s5, s19, 24
	s_mul_hi_u32 s17, s18, 24
	s_mul_i32 s18, s18, 24
	s_add_i32 s17, s17, s5
	s_waitcnt vmcnt(0)
	v_add_co_u32 v1, vcc_lo, v8, s18
	v_add_co_ci_u32_e64 v2, null, s17, v9, vcc_lo
	global_store_dwordx2 v[1:2], v[18:19], off
	s_waitcnt_vscnt null, 0x0
	global_atomic_cmpswap_x2 v[16:17], v11, v[16:19], s[6:7] offset:24 glc
	s_waitcnt vmcnt(0)
	v_cmp_ne_u64_e32 vcc_lo, v[16:17], v[18:19]
	s_and_b32 exec_lo, exec_lo, vcc_lo
	s_cbranch_execz .LBB6_1131
; %bb.1212:                             ;   in Loop: Header=BB6_1132 Depth=1
	s_mov_b32 s5, 0
.LBB6_1213:                             ;   Parent Loop BB6_1132 Depth=1
                                        ; =>  This Inner Loop Header: Depth=2
	v_mov_b32_e32 v14, s14
	v_mov_b32_e32 v15, s15
	s_sleep 1
	global_store_dwordx2 v[1:2], v[16:17], off
	s_waitcnt_vscnt null, 0x0
	global_atomic_cmpswap_x2 v[8:9], v11, v[14:17], s[6:7] offset:24 glc
	s_waitcnt vmcnt(0)
	v_cmp_eq_u64_e32 vcc_lo, v[8:9], v[16:17]
	v_mov_b32_e32 v17, v9
	v_mov_b32_e32 v16, v8
	s_or_b32 s5, vcc_lo, s5
	s_andn2_b32 exec_lo, exec_lo, s5
	s_cbranch_execnz .LBB6_1213
	s_branch .LBB6_1131
.LBB6_1214:
	s_mov_b32 s5, 0
	s_branch .LBB6_1216
.LBB6_1215:
	s_mov_b32 s5, -1
                                        ; implicit-def: $vgpr6_vgpr7
.LBB6_1216:
	s_and_b32 vcc_lo, exec_lo, s5
	s_cbranch_vccz .LBB6_1244
; %bb.1217:
	v_readfirstlane_b32 s5, v33
	v_mov_b32_e32 v1, 0
	v_mov_b32_e32 v2, 0
	v_cmp_eq_u32_e64 s5, s5, v33
	s_and_saveexec_b32 s8, s5
	s_cbranch_execz .LBB6_1223
; %bb.1218:
	s_waitcnt vmcnt(0)
	v_mov_b32_e32 v6, 0
	s_mov_b32 s9, exec_lo
	global_load_dwordx2 v[9:10], v6, s[6:7] offset:24 glc dlc
	s_waitcnt vmcnt(0)
	buffer_gl1_inv
	buffer_gl0_inv
	s_clause 0x1
	global_load_dwordx2 v[1:2], v6, s[6:7] offset:40
	global_load_dwordx2 v[7:8], v6, s[6:7]
	s_waitcnt vmcnt(1)
	v_and_b32_e32 v2, v2, v10
	v_and_b32_e32 v1, v1, v9
	v_mul_lo_u32 v2, v2, 24
	v_mul_hi_u32 v11, v1, 24
	v_mul_lo_u32 v1, v1, 24
	v_add_nc_u32_e32 v2, v11, v2
	s_waitcnt vmcnt(0)
	v_add_co_u32 v1, vcc_lo, v7, v1
	v_add_co_ci_u32_e64 v2, null, v8, v2, vcc_lo
	global_load_dwordx2 v[7:8], v[1:2], off glc dlc
	s_waitcnt vmcnt(0)
	global_atomic_cmpswap_x2 v[1:2], v6, v[7:10], s[6:7] offset:24 glc
	s_waitcnt vmcnt(0)
	buffer_gl1_inv
	buffer_gl0_inv
	v_cmpx_ne_u64_e64 v[1:2], v[9:10]
	s_cbranch_execz .LBB6_1222
; %bb.1219:
	s_mov_b32 s10, 0
.LBB6_1220:                             ; =>This Inner Loop Header: Depth=1
	s_sleep 1
	s_clause 0x1
	global_load_dwordx2 v[7:8], v6, s[6:7] offset:40
	global_load_dwordx2 v[11:12], v6, s[6:7]
	v_mov_b32_e32 v10, v2
	v_mov_b32_e32 v9, v1
	s_waitcnt vmcnt(1)
	v_and_b32_e32 v1, v7, v9
	v_and_b32_e32 v7, v8, v10
	s_waitcnt vmcnt(0)
	v_mad_u64_u32 v[1:2], null, v1, 24, v[11:12]
	v_mad_u64_u32 v[7:8], null, v7, 24, v[2:3]
	v_mov_b32_e32 v2, v7
	global_load_dwordx2 v[7:8], v[1:2], off glc dlc
	s_waitcnt vmcnt(0)
	global_atomic_cmpswap_x2 v[1:2], v6, v[7:10], s[6:7] offset:24 glc
	s_waitcnt vmcnt(0)
	buffer_gl1_inv
	buffer_gl0_inv
	v_cmp_eq_u64_e32 vcc_lo, v[1:2], v[9:10]
	s_or_b32 s10, vcc_lo, s10
	s_andn2_b32 exec_lo, exec_lo, s10
	s_cbranch_execnz .LBB6_1220
; %bb.1221:
	s_or_b32 exec_lo, exec_lo, s10
.LBB6_1222:
	s_or_b32 exec_lo, exec_lo, s9
.LBB6_1223:
	s_or_b32 exec_lo, exec_lo, s8
	s_waitcnt vmcnt(0)
	v_mov_b32_e32 v6, 0
	v_readfirstlane_b32 s9, v2
	v_readfirstlane_b32 s8, v1
	s_mov_b32 s12, exec_lo
	s_clause 0x1
	global_load_dwordx2 v[12:13], v6, s[6:7] offset:40
	global_load_dwordx4 v[8:11], v6, s[6:7]
	s_waitcnt vmcnt(1)
	v_readfirstlane_b32 s10, v12
	v_readfirstlane_b32 s11, v13
	s_and_b64 s[10:11], s[10:11], s[8:9]
	s_mul_i32 s13, s11, 24
	s_mul_hi_u32 s14, s10, 24
	s_mul_i32 s15, s10, 24
	s_add_i32 s14, s14, s13
	s_waitcnt vmcnt(0)
	v_add_co_u32 v1, vcc_lo, v8, s15
	v_add_co_ci_u32_e64 v2, null, s14, v9, vcc_lo
	s_and_saveexec_b32 s13, s5
	s_cbranch_execz .LBB6_1225
; %bb.1224:
	v_mov_b32_e32 v12, s12
	v_mov_b32_e32 v13, v6
	;; [unrolled: 1-line block ×4, first 2 shown]
	global_store_dwordx4 v[1:2], v[12:15], off offset:8
.LBB6_1225:
	s_or_b32 exec_lo, exec_lo, s13
	s_lshl_b64 s[10:11], s[10:11], 12
	s_mov_b32 s12, 0
	v_add_co_u32 v10, vcc_lo, v10, s10
	v_add_co_ci_u32_e64 v11, null, s11, v11, vcc_lo
	s_mov_b32 s13, s12
	v_readfirstlane_b32 s10, v10
	v_add_co_u32 v10, vcc_lo, v10, v32
	s_mov_b32 s14, s12
	s_mov_b32 s15, s12
	v_and_or_b32 v4, 0xffffff1f, v4, 32
	v_mov_b32_e32 v7, v6
	v_readfirstlane_b32 s11, v11
	v_mov_b32_e32 v12, s12
	v_add_co_ci_u32_e64 v11, null, 0, v11, vcc_lo
	v_mov_b32_e32 v13, s13
	v_mov_b32_e32 v14, s14
	;; [unrolled: 1-line block ×3, first 2 shown]
	global_store_dwordx4 v32, v[4:7], s[10:11]
	global_store_dwordx4 v32, v[12:15], s[10:11] offset:16
	global_store_dwordx4 v32, v[12:15], s[10:11] offset:32
	;; [unrolled: 1-line block ×3, first 2 shown]
	s_and_saveexec_b32 s10, s5
	s_cbranch_execz .LBB6_1233
; %bb.1226:
	v_mov_b32_e32 v12, 0
	v_mov_b32_e32 v13, s8
	;; [unrolled: 1-line block ×3, first 2 shown]
	s_clause 0x1
	global_load_dwordx2 v[15:16], v12, s[6:7] offset:32 glc dlc
	global_load_dwordx2 v[4:5], v12, s[6:7] offset:40
	s_waitcnt vmcnt(0)
	v_readfirstlane_b32 s12, v4
	v_readfirstlane_b32 s13, v5
	s_and_b64 s[12:13], s[12:13], s[8:9]
	s_mul_i32 s11, s13, 24
	s_mul_hi_u32 s13, s12, 24
	s_mul_i32 s12, s12, 24
	s_add_i32 s13, s13, s11
	v_add_co_u32 v8, vcc_lo, v8, s12
	v_add_co_ci_u32_e64 v9, null, s13, v9, vcc_lo
	s_mov_b32 s11, exec_lo
	global_store_dwordx2 v[8:9], v[15:16], off
	s_waitcnt_vscnt null, 0x0
	global_atomic_cmpswap_x2 v[6:7], v12, v[13:16], s[6:7] offset:32 glc
	s_waitcnt vmcnt(0)
	v_cmpx_ne_u64_e64 v[6:7], v[15:16]
	s_cbranch_execz .LBB6_1229
; %bb.1227:
	s_mov_b32 s12, 0
.LBB6_1228:                             ; =>This Inner Loop Header: Depth=1
	v_mov_b32_e32 v4, s8
	v_mov_b32_e32 v5, s9
	s_sleep 1
	global_store_dwordx2 v[8:9], v[6:7], off
	s_waitcnt_vscnt null, 0x0
	global_atomic_cmpswap_x2 v[4:5], v12, v[4:7], s[6:7] offset:32 glc
	s_waitcnt vmcnt(0)
	v_cmp_eq_u64_e32 vcc_lo, v[4:5], v[6:7]
	v_mov_b32_e32 v7, v5
	v_mov_b32_e32 v6, v4
	s_or_b32 s12, vcc_lo, s12
	s_andn2_b32 exec_lo, exec_lo, s12
	s_cbranch_execnz .LBB6_1228
.LBB6_1229:
	s_or_b32 exec_lo, exec_lo, s11
	v_mov_b32_e32 v7, 0
	s_mov_b32 s12, exec_lo
	s_mov_b32 s11, exec_lo
	v_mbcnt_lo_u32_b32 v6, s12, 0
	global_load_dwordx2 v[4:5], v7, s[6:7] offset:16
	v_cmpx_eq_u32_e32 0, v6
	s_cbranch_execz .LBB6_1231
; %bb.1230:
	s_bcnt1_i32_b32 s12, s12
	v_mov_b32_e32 v6, s12
	s_waitcnt vmcnt(0)
	global_atomic_add_x2 v[4:5], v[6:7], off offset:8
.LBB6_1231:
	s_or_b32 exec_lo, exec_lo, s11
	s_waitcnt vmcnt(0)
	global_load_dwordx2 v[6:7], v[4:5], off offset:16
	s_waitcnt vmcnt(0)
	v_cmp_eq_u64_e32 vcc_lo, 0, v[6:7]
	s_cbranch_vccnz .LBB6_1233
; %bb.1232:
	global_load_dword v4, v[4:5], off offset:24
	v_mov_b32_e32 v5, 0
	s_waitcnt vmcnt(0)
	v_readfirstlane_b32 s11, v4
	s_waitcnt_vscnt null, 0x0
	global_store_dwordx2 v[6:7], v[4:5], off
	s_and_b32 m0, s11, 0x7fffff
	s_sendmsg sendmsg(MSG_INTERRUPT)
.LBB6_1233:
	s_or_b32 exec_lo, exec_lo, s10
	s_branch .LBB6_1237
.LBB6_1234:                             ;   in Loop: Header=BB6_1237 Depth=1
	s_or_b32 exec_lo, exec_lo, s10
	v_readfirstlane_b32 s10, v4
	s_cmp_eq_u32 s10, 0
	s_cbranch_scc1 .LBB6_1236
; %bb.1235:                             ;   in Loop: Header=BB6_1237 Depth=1
	s_sleep 1
	s_cbranch_execnz .LBB6_1237
	s_branch .LBB6_1239
.LBB6_1236:
	s_branch .LBB6_1239
.LBB6_1237:                             ; =>This Inner Loop Header: Depth=1
	v_mov_b32_e32 v4, 1
	s_and_saveexec_b32 s10, s5
	s_cbranch_execz .LBB6_1234
; %bb.1238:                             ;   in Loop: Header=BB6_1237 Depth=1
	global_load_dword v4, v[1:2], off offset:20 glc dlc
	s_waitcnt vmcnt(0)
	buffer_gl1_inv
	buffer_gl0_inv
	v_and_b32_e32 v4, 1, v4
	s_branch .LBB6_1234
.LBB6_1239:
	global_load_dwordx2 v[6:7], v[10:11], off
	s_and_saveexec_b32 s10, s5
	s_cbranch_execz .LBB6_1243
; %bb.1240:
	v_mov_b32_e32 v4, 0
	s_clause 0x2
	global_load_dwordx2 v[1:2], v4, s[6:7] offset:40
	global_load_dwordx2 v[12:13], v4, s[6:7] offset:24 glc dlc
	global_load_dwordx2 v[8:9], v4, s[6:7]
	s_waitcnt vmcnt(2)
	v_readfirstlane_b32 s12, v1
	v_readfirstlane_b32 s13, v2
	s_add_u32 s5, s12, 1
	s_addc_u32 s11, s13, 0
	s_add_u32 s8, s5, s8
	s_addc_u32 s9, s11, s9
	s_cmp_eq_u64 s[8:9], 0
	s_cselect_b32 s9, s11, s9
	s_cselect_b32 s8, s5, s8
	v_mov_b32_e32 v11, s9
	s_and_b64 s[12:13], s[8:9], s[12:13]
	v_mov_b32_e32 v10, s8
	s_mul_i32 s5, s13, 24
	s_mul_hi_u32 s11, s12, 24
	s_mul_i32 s12, s12, 24
	s_add_i32 s11, s11, s5
	s_waitcnt vmcnt(0)
	v_add_co_u32 v1, vcc_lo, v8, s12
	v_add_co_ci_u32_e64 v2, null, s11, v9, vcc_lo
	global_store_dwordx2 v[1:2], v[12:13], off
	s_waitcnt_vscnt null, 0x0
	global_atomic_cmpswap_x2 v[10:11], v4, v[10:13], s[6:7] offset:24 glc
	s_waitcnt vmcnt(0)
	v_cmp_ne_u64_e32 vcc_lo, v[10:11], v[12:13]
	s_and_b32 exec_lo, exec_lo, vcc_lo
	s_cbranch_execz .LBB6_1243
; %bb.1241:
	s_mov_b32 s5, 0
.LBB6_1242:                             ; =>This Inner Loop Header: Depth=1
	v_mov_b32_e32 v8, s8
	v_mov_b32_e32 v9, s9
	s_sleep 1
	global_store_dwordx2 v[1:2], v[10:11], off
	s_waitcnt_vscnt null, 0x0
	global_atomic_cmpswap_x2 v[8:9], v4, v[8:11], s[6:7] offset:24 glc
	s_waitcnt vmcnt(0)
	v_cmp_eq_u64_e32 vcc_lo, v[8:9], v[10:11]
	v_mov_b32_e32 v11, v9
	v_mov_b32_e32 v10, v8
	s_or_b32 s5, vcc_lo, s5
	s_andn2_b32 exec_lo, exec_lo, s5
	s_cbranch_execnz .LBB6_1242
.LBB6_1243:
	s_or_b32 exec_lo, exec_lo, s10
.LBB6_1244:
	v_readfirstlane_b32 s5, v33
	v_mov_b32_e32 v1, 0
	v_mov_b32_e32 v2, 0
	v_cmp_eq_u32_e64 s5, s5, v33
	s_and_saveexec_b32 s8, s5
	s_cbranch_execz .LBB6_1250
; %bb.1245:
	s_waitcnt vmcnt(0)
	v_mov_b32_e32 v4, 0
	s_mov_b32 s9, exec_lo
	global_load_dwordx2 v[10:11], v4, s[6:7] offset:24 glc dlc
	s_waitcnt vmcnt(0)
	buffer_gl1_inv
	buffer_gl0_inv
	s_clause 0x1
	global_load_dwordx2 v[1:2], v4, s[6:7] offset:40
	global_load_dwordx2 v[8:9], v4, s[6:7]
	s_waitcnt vmcnt(1)
	v_and_b32_e32 v2, v2, v11
	v_and_b32_e32 v1, v1, v10
	v_mul_lo_u32 v2, v2, 24
	v_mul_hi_u32 v5, v1, 24
	v_mul_lo_u32 v1, v1, 24
	v_add_nc_u32_e32 v2, v5, v2
	s_waitcnt vmcnt(0)
	v_add_co_u32 v1, vcc_lo, v8, v1
	v_add_co_ci_u32_e64 v2, null, v9, v2, vcc_lo
	global_load_dwordx2 v[8:9], v[1:2], off glc dlc
	s_waitcnt vmcnt(0)
	global_atomic_cmpswap_x2 v[1:2], v4, v[8:11], s[6:7] offset:24 glc
	s_waitcnt vmcnt(0)
	buffer_gl1_inv
	buffer_gl0_inv
	v_cmpx_ne_u64_e64 v[1:2], v[10:11]
	s_cbranch_execz .LBB6_1249
; %bb.1246:
	s_mov_b32 s10, 0
.LBB6_1247:                             ; =>This Inner Loop Header: Depth=1
	s_sleep 1
	s_clause 0x1
	global_load_dwordx2 v[8:9], v4, s[6:7] offset:40
	global_load_dwordx2 v[12:13], v4, s[6:7]
	v_mov_b32_e32 v11, v2
	v_mov_b32_e32 v10, v1
	s_waitcnt vmcnt(1)
	v_and_b32_e32 v1, v8, v10
	v_and_b32_e32 v5, v9, v11
	s_waitcnt vmcnt(0)
	v_mad_u64_u32 v[1:2], null, v1, 24, v[12:13]
	v_mad_u64_u32 v[8:9], null, v5, 24, v[2:3]
	v_mov_b32_e32 v2, v8
	global_load_dwordx2 v[8:9], v[1:2], off glc dlc
	s_waitcnt vmcnt(0)
	global_atomic_cmpswap_x2 v[1:2], v4, v[8:11], s[6:7] offset:24 glc
	s_waitcnt vmcnt(0)
	buffer_gl1_inv
	buffer_gl0_inv
	v_cmp_eq_u64_e32 vcc_lo, v[1:2], v[10:11]
	s_or_b32 s10, vcc_lo, s10
	s_andn2_b32 exec_lo, exec_lo, s10
	s_cbranch_execnz .LBB6_1247
; %bb.1248:
	s_or_b32 exec_lo, exec_lo, s10
.LBB6_1249:
	s_or_b32 exec_lo, exec_lo, s9
.LBB6_1250:
	s_or_b32 exec_lo, exec_lo, s8
	v_mov_b32_e32 v9, 0
	v_readfirstlane_b32 s9, v2
	v_readfirstlane_b32 s8, v1
	s_mov_b32 s12, exec_lo
	s_clause 0x1
	global_load_dwordx2 v[4:5], v9, s[6:7] offset:40
	global_load_dwordx4 v[10:13], v9, s[6:7]
	s_waitcnt vmcnt(1)
	v_readfirstlane_b32 s10, v4
	v_readfirstlane_b32 s11, v5
	s_and_b64 s[10:11], s[10:11], s[8:9]
	s_mul_i32 s13, s11, 24
	s_mul_hi_u32 s14, s10, 24
	s_mul_i32 s15, s10, 24
	s_add_i32 s14, s14, s13
	s_waitcnt vmcnt(0)
	v_add_co_u32 v1, vcc_lo, v10, s15
	v_add_co_ci_u32_e64 v2, null, s14, v11, vcc_lo
	s_and_saveexec_b32 s13, s5
	s_cbranch_execz .LBB6_1252
; %bb.1251:
	v_mov_b32_e32 v8, s12
	v_mov_b32_e32 v15, v9
	;; [unrolled: 1-line block ×5, first 2 shown]
	global_store_dwordx4 v[1:2], v[14:17], off offset:8
.LBB6_1252:
	s_or_b32 exec_lo, exec_lo, s13
	s_lshl_b64 s[10:11], s[10:11], 12
	s_mov_b32 s12, 0
	v_add_co_u32 v4, vcc_lo, v12, s10
	v_add_co_ci_u32_e64 v5, null, s11, v13, vcc_lo
	s_mov_b32 s15, s12
	v_add_co_u32 v12, vcc_lo, v4, v32
	s_mov_b32 s13, s12
	s_mov_b32 s14, s12
	v_and_or_b32 v6, 0xffffff1f, v6, 32
	v_mov_b32_e32 v8, v34
	v_readfirstlane_b32 s10, v4
	v_readfirstlane_b32 s11, v5
	v_mov_b32_e32 v17, s15
	v_add_co_ci_u32_e64 v13, null, 0, v5, vcc_lo
	v_mov_b32_e32 v16, s14
	v_mov_b32_e32 v15, s13
	;; [unrolled: 1-line block ×3, first 2 shown]
	global_store_dwordx4 v32, v[6:9], s[10:11]
	global_store_dwordx4 v32, v[14:17], s[10:11] offset:16
	global_store_dwordx4 v32, v[14:17], s[10:11] offset:32
	;; [unrolled: 1-line block ×3, first 2 shown]
	s_and_saveexec_b32 s10, s5
	s_cbranch_execz .LBB6_1260
; %bb.1253:
	v_mov_b32_e32 v14, 0
	v_mov_b32_e32 v15, s8
	;; [unrolled: 1-line block ×3, first 2 shown]
	s_clause 0x1
	global_load_dwordx2 v[17:18], v14, s[6:7] offset:32 glc dlc
	global_load_dwordx2 v[4:5], v14, s[6:7] offset:40
	s_waitcnt vmcnt(0)
	v_readfirstlane_b32 s12, v4
	v_readfirstlane_b32 s13, v5
	s_and_b64 s[12:13], s[12:13], s[8:9]
	s_mul_i32 s11, s13, 24
	s_mul_hi_u32 s13, s12, 24
	s_mul_i32 s12, s12, 24
	s_add_i32 s13, s13, s11
	v_add_co_u32 v8, vcc_lo, v10, s12
	v_add_co_ci_u32_e64 v9, null, s13, v11, vcc_lo
	s_mov_b32 s11, exec_lo
	global_store_dwordx2 v[8:9], v[17:18], off
	s_waitcnt_vscnt null, 0x0
	global_atomic_cmpswap_x2 v[6:7], v14, v[15:18], s[6:7] offset:32 glc
	s_waitcnt vmcnt(0)
	v_cmpx_ne_u64_e64 v[6:7], v[17:18]
	s_cbranch_execz .LBB6_1256
; %bb.1254:
	s_mov_b32 s12, 0
.LBB6_1255:                             ; =>This Inner Loop Header: Depth=1
	v_mov_b32_e32 v4, s8
	v_mov_b32_e32 v5, s9
	s_sleep 1
	global_store_dwordx2 v[8:9], v[6:7], off
	s_waitcnt_vscnt null, 0x0
	global_atomic_cmpswap_x2 v[4:5], v14, v[4:7], s[6:7] offset:32 glc
	s_waitcnt vmcnt(0)
	v_cmp_eq_u64_e32 vcc_lo, v[4:5], v[6:7]
	v_mov_b32_e32 v7, v5
	v_mov_b32_e32 v6, v4
	s_or_b32 s12, vcc_lo, s12
	s_andn2_b32 exec_lo, exec_lo, s12
	s_cbranch_execnz .LBB6_1255
.LBB6_1256:
	s_or_b32 exec_lo, exec_lo, s11
	v_mov_b32_e32 v7, 0
	s_mov_b32 s12, exec_lo
	s_mov_b32 s11, exec_lo
	v_mbcnt_lo_u32_b32 v6, s12, 0
	global_load_dwordx2 v[4:5], v7, s[6:7] offset:16
	v_cmpx_eq_u32_e32 0, v6
	s_cbranch_execz .LBB6_1258
; %bb.1257:
	s_bcnt1_i32_b32 s12, s12
	v_mov_b32_e32 v6, s12
	s_waitcnt vmcnt(0)
	global_atomic_add_x2 v[4:5], v[6:7], off offset:8
.LBB6_1258:
	s_or_b32 exec_lo, exec_lo, s11
	s_waitcnt vmcnt(0)
	global_load_dwordx2 v[6:7], v[4:5], off offset:16
	s_waitcnt vmcnt(0)
	v_cmp_eq_u64_e32 vcc_lo, 0, v[6:7]
	s_cbranch_vccnz .LBB6_1260
; %bb.1259:
	global_load_dword v4, v[4:5], off offset:24
	v_mov_b32_e32 v5, 0
	s_waitcnt vmcnt(0)
	v_readfirstlane_b32 s11, v4
	s_waitcnt_vscnt null, 0x0
	global_store_dwordx2 v[6:7], v[4:5], off
	s_and_b32 m0, s11, 0x7fffff
	s_sendmsg sendmsg(MSG_INTERRUPT)
.LBB6_1260:
	s_or_b32 exec_lo, exec_lo, s10
	s_branch .LBB6_1264
.LBB6_1261:                             ;   in Loop: Header=BB6_1264 Depth=1
	s_or_b32 exec_lo, exec_lo, s10
	v_readfirstlane_b32 s10, v4
	s_cmp_eq_u32 s10, 0
	s_cbranch_scc1 .LBB6_1263
; %bb.1262:                             ;   in Loop: Header=BB6_1264 Depth=1
	s_sleep 1
	s_cbranch_execnz .LBB6_1264
	s_branch .LBB6_1266
.LBB6_1263:
	s_branch .LBB6_1266
.LBB6_1264:                             ; =>This Inner Loop Header: Depth=1
	v_mov_b32_e32 v4, 1
	s_and_saveexec_b32 s10, s5
	s_cbranch_execz .LBB6_1261
; %bb.1265:                             ;   in Loop: Header=BB6_1264 Depth=1
	global_load_dword v4, v[1:2], off offset:20 glc dlc
	s_waitcnt vmcnt(0)
	buffer_gl1_inv
	buffer_gl0_inv
	v_and_b32_e32 v4, 1, v4
	s_branch .LBB6_1261
.LBB6_1266:
	global_load_dwordx2 v[1:2], v[12:13], off
	s_and_saveexec_b32 s10, s5
	s_cbranch_execz .LBB6_1270
; %bb.1267:
	v_mov_b32_e32 v10, 0
	s_clause 0x2
	global_load_dwordx2 v[4:5], v10, s[6:7] offset:40
	global_load_dwordx2 v[13:14], v10, s[6:7] offset:24 glc dlc
	global_load_dwordx2 v[6:7], v10, s[6:7]
	s_waitcnt vmcnt(2)
	v_readfirstlane_b32 s12, v4
	v_readfirstlane_b32 s13, v5
	s_add_u32 s5, s12, 1
	s_addc_u32 s11, s13, 0
	s_add_u32 s8, s5, s8
	s_addc_u32 s9, s11, s9
	s_cmp_eq_u64 s[8:9], 0
	s_cselect_b32 s9, s11, s9
	s_cselect_b32 s8, s5, s8
	v_mov_b32_e32 v12, s9
	s_and_b64 s[12:13], s[8:9], s[12:13]
	v_mov_b32_e32 v11, s8
	s_mul_i32 s5, s13, 24
	s_mul_hi_u32 s11, s12, 24
	s_mul_i32 s12, s12, 24
	s_add_i32 s11, s11, s5
	s_waitcnt vmcnt(0)
	v_add_co_u32 v8, vcc_lo, v6, s12
	v_add_co_ci_u32_e64 v9, null, s11, v7, vcc_lo
	global_store_dwordx2 v[8:9], v[13:14], off
	s_waitcnt_vscnt null, 0x0
	global_atomic_cmpswap_x2 v[6:7], v10, v[11:14], s[6:7] offset:24 glc
	s_waitcnt vmcnt(0)
	v_cmp_ne_u64_e32 vcc_lo, v[6:7], v[13:14]
	s_and_b32 exec_lo, exec_lo, vcc_lo
	s_cbranch_execz .LBB6_1270
; %bb.1268:
	s_mov_b32 s5, 0
.LBB6_1269:                             ; =>This Inner Loop Header: Depth=1
	v_mov_b32_e32 v4, s8
	v_mov_b32_e32 v5, s9
	s_sleep 1
	global_store_dwordx2 v[8:9], v[6:7], off
	s_waitcnt_vscnt null, 0x0
	global_atomic_cmpswap_x2 v[4:5], v10, v[4:7], s[6:7] offset:24 glc
	s_waitcnt vmcnt(0)
	v_cmp_eq_u64_e32 vcc_lo, v[4:5], v[6:7]
	v_mov_b32_e32 v7, v5
	v_mov_b32_e32 v6, v4
	s_or_b32 s5, vcc_lo, s5
	s_andn2_b32 exec_lo, exec_lo, s5
	s_cbranch_execnz .LBB6_1269
.LBB6_1270:
	s_or_b32 exec_lo, exec_lo, s10
	v_readfirstlane_b32 s5, v33
	v_mov_b32_e32 v9, 0
	v_mov_b32_e32 v10, 0
	v_cmp_eq_u32_e64 s5, s5, v33
	s_and_saveexec_b32 s8, s5
	s_cbranch_execz .LBB6_1276
; %bb.1271:
	v_mov_b32_e32 v4, 0
	s_mov_b32 s9, exec_lo
	global_load_dwordx2 v[7:8], v4, s[6:7] offset:24 glc dlc
	s_waitcnt vmcnt(0)
	buffer_gl1_inv
	buffer_gl0_inv
	s_clause 0x1
	global_load_dwordx2 v[5:6], v4, s[6:7] offset:40
	global_load_dwordx2 v[9:10], v4, s[6:7]
	s_waitcnt vmcnt(1)
	v_and_b32_e32 v6, v6, v8
	v_and_b32_e32 v5, v5, v7
	v_mul_lo_u32 v6, v6, 24
	v_mul_hi_u32 v11, v5, 24
	v_mul_lo_u32 v5, v5, 24
	v_add_nc_u32_e32 v6, v11, v6
	s_waitcnt vmcnt(0)
	v_add_co_u32 v5, vcc_lo, v9, v5
	v_add_co_ci_u32_e64 v6, null, v10, v6, vcc_lo
	global_load_dwordx2 v[5:6], v[5:6], off glc dlc
	s_waitcnt vmcnt(0)
	global_atomic_cmpswap_x2 v[9:10], v4, v[5:8], s[6:7] offset:24 glc
	s_waitcnt vmcnt(0)
	buffer_gl1_inv
	buffer_gl0_inv
	v_cmpx_ne_u64_e64 v[9:10], v[7:8]
	s_cbranch_execz .LBB6_1275
; %bb.1272:
	s_mov_b32 s10, 0
.LBB6_1273:                             ; =>This Inner Loop Header: Depth=1
	s_sleep 1
	s_clause 0x1
	global_load_dwordx2 v[5:6], v4, s[6:7] offset:40
	global_load_dwordx2 v[11:12], v4, s[6:7]
	v_mov_b32_e32 v7, v9
	v_mov_b32_e32 v8, v10
	s_waitcnt vmcnt(1)
	v_and_b32_e32 v5, v5, v7
	v_and_b32_e32 v6, v6, v8
	s_waitcnt vmcnt(0)
	v_mad_u64_u32 v[9:10], null, v5, 24, v[11:12]
	v_mov_b32_e32 v5, v10
	v_mad_u64_u32 v[5:6], null, v6, 24, v[5:6]
	v_mov_b32_e32 v10, v5
	global_load_dwordx2 v[5:6], v[9:10], off glc dlc
	s_waitcnt vmcnt(0)
	global_atomic_cmpswap_x2 v[9:10], v4, v[5:8], s[6:7] offset:24 glc
	s_waitcnt vmcnt(0)
	buffer_gl1_inv
	buffer_gl0_inv
	v_cmp_eq_u64_e32 vcc_lo, v[9:10], v[7:8]
	s_or_b32 s10, vcc_lo, s10
	s_andn2_b32 exec_lo, exec_lo, s10
	s_cbranch_execnz .LBB6_1273
; %bb.1274:
	s_or_b32 exec_lo, exec_lo, s10
.LBB6_1275:
	s_or_b32 exec_lo, exec_lo, s9
.LBB6_1276:
	s_or_b32 exec_lo, exec_lo, s8
	v_mov_b32_e32 v4, 0
	v_readfirstlane_b32 s9, v10
	v_readfirstlane_b32 s8, v9
	s_mov_b32 s12, exec_lo
	s_clause 0x1
	global_load_dwordx2 v[11:12], v4, s[6:7] offset:40
	global_load_dwordx4 v[5:8], v4, s[6:7]
	s_waitcnt vmcnt(1)
	v_readfirstlane_b32 s10, v11
	v_readfirstlane_b32 s11, v12
	s_and_b64 s[10:11], s[10:11], s[8:9]
	s_mul_i32 s13, s11, 24
	s_mul_hi_u32 s14, s10, 24
	s_mul_i32 s15, s10, 24
	s_add_i32 s14, s14, s13
	s_waitcnt vmcnt(0)
	v_add_co_u32 v9, vcc_lo, v5, s15
	v_add_co_ci_u32_e64 v10, null, s14, v6, vcc_lo
	s_and_saveexec_b32 s13, s5
	s_cbranch_execz .LBB6_1278
; %bb.1277:
	v_mov_b32_e32 v11, s12
	v_mov_b32_e32 v12, v4
	;; [unrolled: 1-line block ×4, first 2 shown]
	global_store_dwordx4 v[9:10], v[11:14], off offset:8
.LBB6_1278:
	s_or_b32 exec_lo, exec_lo, s13
	s_lshl_b64 s[10:11], s[10:11], 12
	s_mov_b32 s12, 0
	v_add_co_u32 v7, vcc_lo, v7, s10
	v_add_co_ci_u32_e64 v8, null, s11, v8, vcc_lo
	s_mov_b32 s13, s12
	s_mov_b32 s14, s12
	;; [unrolled: 1-line block ×3, first 2 shown]
	v_and_or_b32 v1, 0xffffff1d, v1, 34
	v_readfirstlane_b32 s10, v7
	v_readfirstlane_b32 s11, v8
	v_mov_b32_e32 v11, s12
	v_mov_b32_e32 v12, s13
	v_mov_b32_e32 v13, s14
	v_mov_b32_e32 v14, s15
	global_store_dwordx4 v32, v[1:4], s[10:11]
	global_store_dwordx4 v32, v[11:14], s[10:11] offset:16
	global_store_dwordx4 v32, v[11:14], s[10:11] offset:32
	;; [unrolled: 1-line block ×3, first 2 shown]
	s_and_saveexec_b32 s10, s5
	s_cbranch_execz .LBB6_1286
; %bb.1279:
	v_mov_b32_e32 v7, 0
	v_mov_b32_e32 v11, s8
	;; [unrolled: 1-line block ×3, first 2 shown]
	s_clause 0x1
	global_load_dwordx2 v[13:14], v7, s[6:7] offset:32 glc dlc
	global_load_dwordx2 v[1:2], v7, s[6:7] offset:40
	s_waitcnt vmcnt(0)
	v_readfirstlane_b32 s12, v1
	v_readfirstlane_b32 s13, v2
	s_and_b64 s[12:13], s[12:13], s[8:9]
	s_mul_i32 s11, s13, 24
	s_mul_hi_u32 s13, s12, 24
	s_mul_i32 s12, s12, 24
	s_add_i32 s13, s13, s11
	v_add_co_u32 v5, vcc_lo, v5, s12
	v_add_co_ci_u32_e64 v6, null, s13, v6, vcc_lo
	s_mov_b32 s11, exec_lo
	global_store_dwordx2 v[5:6], v[13:14], off
	s_waitcnt_vscnt null, 0x0
	global_atomic_cmpswap_x2 v[3:4], v7, v[11:14], s[6:7] offset:32 glc
	s_waitcnt vmcnt(0)
	v_cmpx_ne_u64_e64 v[3:4], v[13:14]
	s_cbranch_execz .LBB6_1282
; %bb.1280:
	s_mov_b32 s12, 0
.LBB6_1281:                             ; =>This Inner Loop Header: Depth=1
	v_mov_b32_e32 v1, s8
	v_mov_b32_e32 v2, s9
	s_sleep 1
	global_store_dwordx2 v[5:6], v[3:4], off
	s_waitcnt_vscnt null, 0x0
	global_atomic_cmpswap_x2 v[1:2], v7, v[1:4], s[6:7] offset:32 glc
	s_waitcnt vmcnt(0)
	v_cmp_eq_u64_e32 vcc_lo, v[1:2], v[3:4]
	v_mov_b32_e32 v4, v2
	v_mov_b32_e32 v3, v1
	s_or_b32 s12, vcc_lo, s12
	s_andn2_b32 exec_lo, exec_lo, s12
	s_cbranch_execnz .LBB6_1281
.LBB6_1282:
	s_or_b32 exec_lo, exec_lo, s11
	v_mov_b32_e32 v4, 0
	s_mov_b32 s12, exec_lo
	s_mov_b32 s11, exec_lo
	v_mbcnt_lo_u32_b32 v3, s12, 0
	global_load_dwordx2 v[1:2], v4, s[6:7] offset:16
	v_cmpx_eq_u32_e32 0, v3
	s_cbranch_execz .LBB6_1284
; %bb.1283:
	s_bcnt1_i32_b32 s12, s12
	v_mov_b32_e32 v3, s12
	s_waitcnt vmcnt(0)
	global_atomic_add_x2 v[1:2], v[3:4], off offset:8
.LBB6_1284:
	s_or_b32 exec_lo, exec_lo, s11
	s_waitcnt vmcnt(0)
	global_load_dwordx2 v[3:4], v[1:2], off offset:16
	s_waitcnt vmcnt(0)
	v_cmp_eq_u64_e32 vcc_lo, 0, v[3:4]
	s_cbranch_vccnz .LBB6_1286
; %bb.1285:
	global_load_dword v1, v[1:2], off offset:24
	v_mov_b32_e32 v2, 0
	s_waitcnt vmcnt(0)
	v_readfirstlane_b32 s11, v1
	s_waitcnt_vscnt null, 0x0
	global_store_dwordx2 v[3:4], v[1:2], off
	s_and_b32 m0, s11, 0x7fffff
	s_sendmsg sendmsg(MSG_INTERRUPT)
.LBB6_1286:
	s_or_b32 exec_lo, exec_lo, s10
	s_branch .LBB6_1290
.LBB6_1287:                             ;   in Loop: Header=BB6_1290 Depth=1
	s_or_b32 exec_lo, exec_lo, s10
	v_readfirstlane_b32 s10, v1
	s_cmp_eq_u32 s10, 0
	s_cbranch_scc1 .LBB6_1289
; %bb.1288:                             ;   in Loop: Header=BB6_1290 Depth=1
	s_sleep 1
	s_cbranch_execnz .LBB6_1290
	s_branch .LBB6_1292
.LBB6_1289:
	s_branch .LBB6_1292
.LBB6_1290:                             ; =>This Inner Loop Header: Depth=1
	v_mov_b32_e32 v1, 1
	s_and_saveexec_b32 s10, s5
	s_cbranch_execz .LBB6_1287
; %bb.1291:                             ;   in Loop: Header=BB6_1290 Depth=1
	global_load_dword v1, v[9:10], off offset:20 glc dlc
	s_waitcnt vmcnt(0)
	buffer_gl1_inv
	buffer_gl0_inv
	v_and_b32_e32 v1, 1, v1
	s_branch .LBB6_1287
.LBB6_1292:
	s_and_b32 exec_lo, exec_lo, s5
	s_cbranch_execz .LBB6_1296
; %bb.1293:
	v_mov_b32_e32 v7, 0
	s_clause 0x2
	global_load_dwordx2 v[1:2], v7, s[6:7] offset:40
	global_load_dwordx2 v[10:11], v7, s[6:7] offset:24 glc dlc
	global_load_dwordx2 v[3:4], v7, s[6:7]
	s_waitcnt vmcnt(2)
	v_readfirstlane_b32 s10, v1
	v_readfirstlane_b32 s11, v2
	s_add_u32 s5, s10, 1
	s_addc_u32 s12, s11, 0
	s_add_u32 s8, s5, s8
	s_addc_u32 s9, s12, s9
	s_cmp_eq_u64 s[8:9], 0
	s_cselect_b32 s9, s12, s9
	s_cselect_b32 s8, s5, s8
	v_mov_b32_e32 v9, s9
	s_and_b64 s[10:11], s[8:9], s[10:11]
	v_mov_b32_e32 v8, s8
	s_mul_i32 s5, s11, 24
	s_mul_hi_u32 s11, s10, 24
	s_mul_i32 s10, s10, 24
	s_add_i32 s11, s11, s5
	s_waitcnt vmcnt(0)
	v_add_co_u32 v5, vcc_lo, v3, s10
	v_add_co_ci_u32_e64 v6, null, s11, v4, vcc_lo
	global_store_dwordx2 v[5:6], v[10:11], off
	s_waitcnt_vscnt null, 0x0
	global_atomic_cmpswap_x2 v[3:4], v7, v[8:11], s[6:7] offset:24 glc
	s_waitcnt vmcnt(0)
	v_cmp_ne_u64_e32 vcc_lo, v[3:4], v[10:11]
	s_and_b32 exec_lo, exec_lo, vcc_lo
	s_cbranch_execz .LBB6_1296
; %bb.1294:
	s_mov_b32 s5, 0
.LBB6_1295:                             ; =>This Inner Loop Header: Depth=1
	v_mov_b32_e32 v1, s8
	v_mov_b32_e32 v2, s9
	s_sleep 1
	global_store_dwordx2 v[5:6], v[3:4], off
	s_waitcnt_vscnt null, 0x0
	global_atomic_cmpswap_x2 v[1:2], v7, v[1:4], s[6:7] offset:24 glc
	s_waitcnt vmcnt(0)
	v_cmp_eq_u64_e32 vcc_lo, v[1:2], v[3:4]
	v_mov_b32_e32 v4, v2
	v_mov_b32_e32 v3, v1
	s_or_b32 s5, vcc_lo, s5
	s_andn2_b32 exec_lo, exec_lo, s5
	s_cbranch_execnz .LBB6_1295
.LBB6_1296:
	s_or_b32 exec_lo, exec_lo, s20
	v_or_b32_e32 v0, v0, v41
	s_xor_b32 s4, s4, -1
	s_mov_b32 s23, 0
                                        ; implicit-def: $vgpr41
	v_cmp_lt_i32_e32 vcc_lo, -1, v0
	s_and_b32 s4, vcc_lo, s4
	s_and_saveexec_b32 s5, s4
	s_xor_b32 s4, exec_lo, s5
	s_cbranch_execz .LBB6_1298
; %bb.1297:
	flat_load_dword v0, v[42:43]
	v_lshl_or_b32 v29, v31, 1, 1
	s_mov_b32 s23, exec_lo
	s_waitcnt vmcnt(0) lgkmcnt(0)
	v_ashrrev_i32_e32 v1, 31, v0
	v_add_nc_u32_e32 v3, 1, v0
	v_lshl_or_b32 v41, v0, 1, 1
	v_lshlrev_b64 v[1:2], 3, v[0:1]
	v_add_co_u32 v1, vcc_lo, v42, v1
	v_add_co_ci_u32_e64 v2, null, v43, v2, vcc_lo
	flat_store_dword v[42:43], v3
	flat_store_dwordx2 v[1:2], v[29:30] offset:8
.LBB6_1298:
	s_or_saveexec_b32 s24, s4
	s_mov_b32 s4, s21
	s_xor_b32 exec_lo, exec_lo, s24
	s_cbranch_execz .LBB6_1300
; %bb.1299:
	s_getpc_b64 s[4:5]
	s_add_u32 s4, s4, .str.46@rel32@lo+4
	s_addc_u32 s5, s5, .str.46@rel32@hi+12
	s_getpc_b64 s[6:7]
	s_add_u32 s6, s6, .str.44@rel32@lo+4
	s_addc_u32 s7, s7, .str.44@rel32@hi+12
	s_getpc_b64 s[8:9]
	s_add_u32 s8, s8, __PRETTY_FUNCTION__._ZN8subgUtil18formAndNodeKeyFlagEiii@rel32@lo+4
	s_addc_u32 s9, s9, __PRETTY_FUNCTION__._ZN8subgUtil18formAndNodeKeyFlagEiii@rel32@hi+12
	v_mov_b32_e32 v0, s4
	v_mov_b32_e32 v1, s5
	v_mov_b32_e32 v2, s6
	v_mov_b32_e32 v3, s7
	v_mov_b32_e32 v4, 35
	v_mov_b32_e32 v5, s8
	v_mov_b32_e32 v6, s9
	s_getpc_b64 s[10:11]
	s_add_u32 s10, s10, __assert_fail@rel32@lo+4
	s_addc_u32 s11, s11, __assert_fail@rel32@hi+12
	s_mov_b64 s[8:9], s[52:53]
	s_swappc_b64 s[30:31], s[10:11]
	s_or_b32 s4, s21, exec_lo
.LBB6_1300:
	s_or_b32 exec_lo, exec_lo, s24
	s_andn2_b32 s5, s21, exec_lo
	s_and_b32 s4, s4, exec_lo
	s_or_b32 s21, s5, s4
	s_and_b32 s4, s23, exec_lo
.LBB6_1301:
	s_or_b32 exec_lo, exec_lo, s22
	s_andn2_b32 s5, s34, exec_lo
	s_and_b32 s6, s21, exec_lo
	s_orn2_b32 s4, s4, exec_lo
	s_or_b32 s5, s5, s6
.LBB6_1302:
	s_or_b32 exec_lo, exec_lo, s37
	s_mov_b32 s6, 0
	s_and_saveexec_b32 s7, s4
	s_xor_b32 s4, exec_lo, s7
; %bb.1303:
	s_mov_b32 s6, exec_lo
; %bb.1304:
	s_or_b32 exec_lo, exec_lo, s4
	s_andn2_b32 s4, s34, exec_lo
	s_and_b32 s5, s5, exec_lo
	s_and_b32 s21, s6, exec_lo
	s_or_b32 s22, s4, s5
.LBB6_1305:
	s_andn2_saveexec_b32 s23, s36
	s_cbranch_execz .LBB6_1307
; %bb.1306:
	s_getpc_b64 s[4:5]
	s_add_u32 s4, s4, .str.46@rel32@lo+4
	s_addc_u32 s5, s5, .str.46@rel32@hi+12
	s_getpc_b64 s[6:7]
	s_add_u32 s6, s6, .str.44@rel32@lo+4
	s_addc_u32 s7, s7, .str.44@rel32@hi+12
	s_getpc_b64 s[8:9]
	s_add_u32 s8, s8, __PRETTY_FUNCTION__._ZN8subgUtil18formAndNodeKeyFlagEiii@rel32@lo+4
	s_addc_u32 s9, s9, __PRETTY_FUNCTION__._ZN8subgUtil18formAndNodeKeyFlagEiii@rel32@hi+12
	v_mov_b32_e32 v0, s4
	v_mov_b32_e32 v1, s5
	;; [unrolled: 1-line block ×7, first 2 shown]
	s_getpc_b64 s[10:11]
	s_add_u32 s10, s10, __assert_fail@rel32@lo+4
	s_addc_u32 s11, s11, __assert_fail@rel32@hi+12
	s_mov_b64 s[8:9], s[52:53]
	s_swappc_b64 s[30:31], s[10:11]
	s_or_b32 s22, s22, exec_lo
.LBB6_1307:
	s_or_b32 exec_lo, exec_lo, s23
	s_andn2_b32 s4, s34, exec_lo
	s_and_b32 s5, s22, exec_lo
	s_or_b32 s34, s4, s5
	s_and_b32 s4, s21, exec_lo
.LBB6_1308:
	s_or_b32 exec_lo, exec_lo, s35
	s_andn2_b32 s5, s69, exec_lo
	s_and_b32 s6, s34, exec_lo
	s_or_b32 s69, s5, s6
	s_and_b32 s5, s4, exec_lo
.LBB6_1309:
	s_or_b32 exec_lo, exec_lo, s70
	s_andn2_b32 s4, s67, exec_lo
	s_and_b32 s6, s69, exec_lo
	s_and_b32 s5, s5, exec_lo
	s_or_b32 s67, s4, s6
.LBB6_1310:
	s_or_b32 exec_lo, exec_lo, s68
	v_readlane_b32 s4, v59, 0
	s_and_b32 s6, s67, exec_lo
	s_and_b32 s21, s5, exec_lo
	s_andn2_b32 s4, s4, exec_lo
	s_or_b32 s22, s4, s6
.LBB6_1311:
	s_andn2_saveexec_b32 s23, s49
	s_cbranch_execz .LBB6_1454
; %bb.1312:
	s_load_dwordx2 s[6:7], s[52:53], 0x50
	v_mbcnt_lo_u32_b32 v29, -1, 0
	v_mov_b32_e32 v6, 0
	v_mov_b32_e32 v7, 0
	v_readfirstlane_b32 s4, v29
	v_cmp_eq_u32_e64 s4, s4, v29
	s_and_saveexec_b32 s5, s4
	s_cbranch_execz .LBB6_1318
; %bb.1313:
	v_mov_b32_e32 v0, 0
	s_mov_b32 s8, exec_lo
	s_waitcnt lgkmcnt(0)
	global_load_dwordx2 v[3:4], v0, s[6:7] offset:24 glc dlc
	s_waitcnt vmcnt(0)
	buffer_gl1_inv
	buffer_gl0_inv
	s_clause 0x1
	global_load_dwordx2 v[1:2], v0, s[6:7] offset:40
	global_load_dwordx2 v[5:6], v0, s[6:7]
	s_waitcnt vmcnt(1)
	v_and_b32_e32 v2, v2, v4
	v_and_b32_e32 v1, v1, v3
	v_mul_lo_u32 v2, v2, 24
	v_mul_hi_u32 v7, v1, 24
	v_mul_lo_u32 v1, v1, 24
	v_add_nc_u32_e32 v2, v7, v2
	s_waitcnt vmcnt(0)
	v_add_co_u32 v1, vcc_lo, v5, v1
	v_add_co_ci_u32_e64 v2, null, v6, v2, vcc_lo
	global_load_dwordx2 v[1:2], v[1:2], off glc dlc
	s_waitcnt vmcnt(0)
	global_atomic_cmpswap_x2 v[6:7], v0, v[1:4], s[6:7] offset:24 glc
	s_waitcnt vmcnt(0)
	buffer_gl1_inv
	buffer_gl0_inv
	v_cmpx_ne_u64_e64 v[6:7], v[3:4]
	s_cbranch_execz .LBB6_1317
; %bb.1314:
	s_mov_b32 s9, 0
.LBB6_1315:                             ; =>This Inner Loop Header: Depth=1
	s_sleep 1
	s_clause 0x1
	global_load_dwordx2 v[1:2], v0, s[6:7] offset:40
	global_load_dwordx2 v[8:9], v0, s[6:7]
	v_mov_b32_e32 v3, v6
	v_mov_b32_e32 v4, v7
	s_waitcnt vmcnt(1)
	v_and_b32_e32 v1, v1, v3
	v_and_b32_e32 v2, v2, v4
	s_waitcnt vmcnt(0)
	v_mad_u64_u32 v[5:6], null, v1, 24, v[8:9]
	v_mov_b32_e32 v1, v6
	v_mad_u64_u32 v[1:2], null, v2, 24, v[1:2]
	v_mov_b32_e32 v6, v1
	global_load_dwordx2 v[1:2], v[5:6], off glc dlc
	s_waitcnt vmcnt(0)
	global_atomic_cmpswap_x2 v[6:7], v0, v[1:4], s[6:7] offset:24 glc
	s_waitcnt vmcnt(0)
	buffer_gl1_inv
	buffer_gl0_inv
	v_cmp_eq_u64_e32 vcc_lo, v[6:7], v[3:4]
	s_or_b32 s9, vcc_lo, s9
	s_andn2_b32 exec_lo, exec_lo, s9
	s_cbranch_execnz .LBB6_1315
; %bb.1316:
	s_or_b32 exec_lo, exec_lo, s9
.LBB6_1317:
	s_or_b32 exec_lo, exec_lo, s8
.LBB6_1318:
	s_or_b32 exec_lo, exec_lo, s5
	v_mov_b32_e32 v5, 0
	v_readfirstlane_b32 s9, v7
	v_readfirstlane_b32 s8, v6
	s_mov_b32 s5, exec_lo
	s_waitcnt lgkmcnt(0)
	s_clause 0x1
	global_load_dwordx2 v[8:9], v5, s[6:7] offset:40
	global_load_dwordx4 v[0:3], v5, s[6:7]
	s_waitcnt vmcnt(1)
	v_readfirstlane_b32 s10, v8
	v_readfirstlane_b32 s11, v9
	s_and_b64 s[10:11], s[10:11], s[8:9]
	s_mul_i32 s12, s11, 24
	s_mul_hi_u32 s13, s10, 24
	s_mul_i32 s14, s10, 24
	s_add_i32 s13, s13, s12
	s_waitcnt vmcnt(0)
	v_add_co_u32 v8, vcc_lo, v0, s14
	v_add_co_ci_u32_e64 v9, null, s13, v1, vcc_lo
	s_and_saveexec_b32 s12, s4
	s_cbranch_execz .LBB6_1320
; %bb.1319:
	v_mov_b32_e32 v4, s5
	v_mov_b32_e32 v6, 2
	;; [unrolled: 1-line block ×3, first 2 shown]
	global_store_dwordx4 v[8:9], v[4:7], off offset:8
.LBB6_1320:
	s_or_b32 exec_lo, exec_lo, s12
	s_lshl_b64 s[10:11], s[10:11], 12
	v_lshlrev_b32_e32 v28, 6, v29
	v_add_co_u32 v2, vcc_lo, v2, s10
	v_add_co_ci_u32_e64 v3, null, s11, v3, vcc_lo
	s_mov_b32 s12, 0
	v_add_co_u32 v10, vcc_lo, v2, v28
	s_mov_b32 s13, s12
	s_mov_b32 s14, s12
	;; [unrolled: 1-line block ×3, first 2 shown]
	v_mov_b32_e32 v4, 33
	v_mov_b32_e32 v6, v5
	v_mov_b32_e32 v7, v5
	v_readfirstlane_b32 s10, v2
	v_readfirstlane_b32 s11, v3
	v_mov_b32_e32 v12, s12
	v_add_co_ci_u32_e64 v11, null, 0, v3, vcc_lo
	v_mov_b32_e32 v13, s13
	v_mov_b32_e32 v14, s14
	v_mov_b32_e32 v15, s15
	global_store_dwordx4 v28, v[4:7], s[10:11]
	global_store_dwordx4 v28, v[12:15], s[10:11] offset:16
	global_store_dwordx4 v28, v[12:15], s[10:11] offset:32
	;; [unrolled: 1-line block ×3, first 2 shown]
	s_and_saveexec_b32 s5, s4
	s_cbranch_execz .LBB6_1328
; %bb.1321:
	v_mov_b32_e32 v6, 0
	v_mov_b32_e32 v12, s8
	;; [unrolled: 1-line block ×3, first 2 shown]
	s_mov_b32 s10, exec_lo
	s_clause 0x1
	global_load_dwordx2 v[14:15], v6, s[6:7] offset:32 glc dlc
	global_load_dwordx2 v[2:3], v6, s[6:7] offset:40
	s_waitcnt vmcnt(0)
	v_and_b32_e32 v3, s9, v3
	v_and_b32_e32 v2, s8, v2
	v_mul_lo_u32 v3, v3, 24
	v_mul_hi_u32 v4, v2, 24
	v_mul_lo_u32 v2, v2, 24
	v_add_nc_u32_e32 v3, v4, v3
	v_add_co_u32 v4, vcc_lo, v0, v2
	v_add_co_ci_u32_e64 v5, null, v1, v3, vcc_lo
	global_store_dwordx2 v[4:5], v[14:15], off
	s_waitcnt_vscnt null, 0x0
	global_atomic_cmpswap_x2 v[2:3], v6, v[12:15], s[6:7] offset:32 glc
	s_waitcnt vmcnt(0)
	v_cmpx_ne_u64_e64 v[2:3], v[14:15]
	s_cbranch_execz .LBB6_1324
; %bb.1322:
	s_mov_b32 s11, 0
.LBB6_1323:                             ; =>This Inner Loop Header: Depth=1
	v_mov_b32_e32 v0, s8
	v_mov_b32_e32 v1, s9
	s_sleep 1
	global_store_dwordx2 v[4:5], v[2:3], off
	s_waitcnt_vscnt null, 0x0
	global_atomic_cmpswap_x2 v[0:1], v6, v[0:3], s[6:7] offset:32 glc
	s_waitcnt vmcnt(0)
	v_cmp_eq_u64_e32 vcc_lo, v[0:1], v[2:3]
	v_mov_b32_e32 v3, v1
	v_mov_b32_e32 v2, v0
	s_or_b32 s11, vcc_lo, s11
	s_andn2_b32 exec_lo, exec_lo, s11
	s_cbranch_execnz .LBB6_1323
.LBB6_1324:
	s_or_b32 exec_lo, exec_lo, s10
	v_mov_b32_e32 v3, 0
	s_mov_b32 s11, exec_lo
	s_mov_b32 s10, exec_lo
	v_mbcnt_lo_u32_b32 v2, s11, 0
	global_load_dwordx2 v[0:1], v3, s[6:7] offset:16
	v_cmpx_eq_u32_e32 0, v2
	s_cbranch_execz .LBB6_1326
; %bb.1325:
	s_bcnt1_i32_b32 s11, s11
	v_mov_b32_e32 v2, s11
	s_waitcnt vmcnt(0)
	global_atomic_add_x2 v[0:1], v[2:3], off offset:8
.LBB6_1326:
	s_or_b32 exec_lo, exec_lo, s10
	s_waitcnt vmcnt(0)
	global_load_dwordx2 v[2:3], v[0:1], off offset:16
	s_waitcnt vmcnt(0)
	v_cmp_eq_u64_e32 vcc_lo, 0, v[2:3]
	s_cbranch_vccnz .LBB6_1328
; %bb.1327:
	global_load_dword v0, v[0:1], off offset:24
	v_mov_b32_e32 v1, 0
	s_waitcnt vmcnt(0)
	v_readfirstlane_b32 s10, v0
	s_waitcnt_vscnt null, 0x0
	global_store_dwordx2 v[2:3], v[0:1], off
	s_and_b32 m0, s10, 0x7fffff
	s_sendmsg sendmsg(MSG_INTERRUPT)
.LBB6_1328:
	s_or_b32 exec_lo, exec_lo, s5
	s_branch .LBB6_1332
.LBB6_1329:                             ;   in Loop: Header=BB6_1332 Depth=1
	s_or_b32 exec_lo, exec_lo, s5
	v_readfirstlane_b32 s5, v0
	s_cmp_eq_u32 s5, 0
	s_cbranch_scc1 .LBB6_1331
; %bb.1330:                             ;   in Loop: Header=BB6_1332 Depth=1
	s_sleep 1
	s_cbranch_execnz .LBB6_1332
	s_branch .LBB6_1334
.LBB6_1331:
	s_branch .LBB6_1334
.LBB6_1332:                             ; =>This Inner Loop Header: Depth=1
	v_mov_b32_e32 v0, 1
	s_and_saveexec_b32 s5, s4
	s_cbranch_execz .LBB6_1329
; %bb.1333:                             ;   in Loop: Header=BB6_1332 Depth=1
	global_load_dword v0, v[8:9], off offset:20 glc dlc
	s_waitcnt vmcnt(0)
	buffer_gl1_inv
	buffer_gl0_inv
	v_and_b32_e32 v0, 1, v0
	s_branch .LBB6_1329
.LBB6_1334:
	global_load_dwordx2 v[0:1], v[10:11], off
	s_and_saveexec_b32 s10, s4
	s_cbranch_execz .LBB6_1338
; %bb.1335:
	v_mov_b32_e32 v8, 0
	s_clause 0x2
	global_load_dwordx2 v[2:3], v8, s[6:7] offset:40
	global_load_dwordx2 v[11:12], v8, s[6:7] offset:24 glc dlc
	global_load_dwordx2 v[4:5], v8, s[6:7]
	s_waitcnt vmcnt(2)
	v_readfirstlane_b32 s12, v2
	v_readfirstlane_b32 s13, v3
	s_add_u32 s11, s12, 1
	s_addc_u32 s14, s13, 0
	s_add_u32 s4, s11, s8
	s_addc_u32 s5, s14, s9
	s_cmp_eq_u64 s[4:5], 0
	s_cselect_b32 s5, s14, s5
	s_cselect_b32 s4, s11, s4
	v_mov_b32_e32 v10, s5
	s_and_b64 s[8:9], s[4:5], s[12:13]
	v_mov_b32_e32 v9, s4
	s_mul_i32 s9, s9, 24
	s_mul_hi_u32 s11, s8, 24
	s_mul_i32 s8, s8, 24
	s_add_i32 s11, s11, s9
	s_waitcnt vmcnt(0)
	v_add_co_u32 v6, vcc_lo, v4, s8
	v_add_co_ci_u32_e64 v7, null, s11, v5, vcc_lo
	global_store_dwordx2 v[6:7], v[11:12], off
	s_waitcnt_vscnt null, 0x0
	global_atomic_cmpswap_x2 v[4:5], v8, v[9:12], s[6:7] offset:24 glc
	s_waitcnt vmcnt(0)
	v_cmp_ne_u64_e32 vcc_lo, v[4:5], v[11:12]
	s_and_b32 exec_lo, exec_lo, vcc_lo
	s_cbranch_execz .LBB6_1338
; %bb.1336:
	s_mov_b32 s8, 0
.LBB6_1337:                             ; =>This Inner Loop Header: Depth=1
	v_mov_b32_e32 v2, s4
	v_mov_b32_e32 v3, s5
	s_sleep 1
	global_store_dwordx2 v[6:7], v[4:5], off
	s_waitcnt_vscnt null, 0x0
	global_atomic_cmpswap_x2 v[2:3], v8, v[2:5], s[6:7] offset:24 glc
	s_waitcnt vmcnt(0)
	v_cmp_eq_u64_e32 vcc_lo, v[2:3], v[4:5]
	v_mov_b32_e32 v5, v3
	v_mov_b32_e32 v4, v2
	s_or_b32 s8, vcc_lo, s8
	s_andn2_b32 exec_lo, exec_lo, s8
	s_cbranch_execnz .LBB6_1337
.LBB6_1338:
	s_or_b32 exec_lo, exec_lo, s10
	s_getpc_b64 s[8:9]
	s_add_u32 s8, s8, .str.28@rel32@lo+4
	s_addc_u32 s9, s9, .str.28@rel32@hi+12
	s_cmp_lg_u64 s[8:9], 0
	s_cbranch_scc0 .LBB6_1424
; %bb.1339:
	s_waitcnt vmcnt(0)
	v_and_b32_e32 v6, -3, v0
	v_mov_b32_e32 v7, v1
	v_mov_b32_e32 v3, 0
	;; [unrolled: 1-line block ×4, first 2 shown]
	s_mov_b64 s[10:11], 35
	s_branch .LBB6_1341
.LBB6_1340:                             ;   in Loop: Header=BB6_1341 Depth=1
	s_or_b32 exec_lo, exec_lo, s16
	s_sub_u32 s10, s10, s12
	s_subb_u32 s11, s11, s13
	s_add_u32 s8, s8, s12
	s_addc_u32 s9, s9, s13
	s_cmp_lg_u64 s[10:11], 0
	s_cbranch_scc0 .LBB6_1423
.LBB6_1341:                             ; =>This Loop Header: Depth=1
                                        ;     Child Loop BB6_1344 Depth 2
                                        ;     Child Loop BB6_1352 Depth 2
                                        ;     Child Loop BB6_1360 Depth 2
                                        ;     Child Loop BB6_1368 Depth 2
                                        ;     Child Loop BB6_1376 Depth 2
                                        ;     Child Loop BB6_1384 Depth 2
                                        ;     Child Loop BB6_1392 Depth 2
                                        ;     Child Loop BB6_1400 Depth 2
                                        ;     Child Loop BB6_1408 Depth 2
                                        ;     Child Loop BB6_1417 Depth 2
                                        ;     Child Loop BB6_1422 Depth 2
	v_cmp_lt_u64_e64 s4, s[10:11], 56
	v_cmp_gt_u64_e64 s14, s[10:11], 7
	s_and_b32 s4, s4, exec_lo
	s_cselect_b32 s13, s11, 0
	s_cselect_b32 s12, s10, 56
	s_add_u32 s4, s8, 8
	s_addc_u32 s5, s9, 0
	s_and_b32 vcc_lo, exec_lo, s14
	s_cbranch_vccnz .LBB6_1346
; %bb.1342:                             ;   in Loop: Header=BB6_1341 Depth=1
	s_waitcnt vmcnt(0)
	v_mov_b32_e32 v8, 0
	v_mov_b32_e32 v9, 0
	s_cmp_eq_u64 s[10:11], 0
	s_cbranch_scc1 .LBB6_1345
; %bb.1343:                             ;   in Loop: Header=BB6_1341 Depth=1
	s_lshl_b64 s[4:5], s[12:13], 3
	s_mov_b64 s[14:15], 0
	s_mov_b64 s[16:17], s[8:9]
.LBB6_1344:                             ;   Parent Loop BB6_1341 Depth=1
                                        ; =>  This Inner Loop Header: Depth=2
	global_load_ubyte v2, v3, s[16:17]
	s_waitcnt vmcnt(0)
	v_and_b32_e32 v2, 0xffff, v2
	v_lshlrev_b64 v[10:11], s14, v[2:3]
	s_add_u32 s14, s14, 8
	s_addc_u32 s15, s15, 0
	s_add_u32 s16, s16, 1
	s_addc_u32 s17, s17, 0
	s_cmp_lg_u32 s4, s14
	v_or_b32_e32 v8, v10, v8
	v_or_b32_e32 v9, v11, v9
	s_cbranch_scc1 .LBB6_1344
.LBB6_1345:                             ;   in Loop: Header=BB6_1341 Depth=1
	s_mov_b32 s14, 0
	s_mov_b64 s[4:5], s[8:9]
	s_branch .LBB6_1347
.LBB6_1346:                             ;   in Loop: Header=BB6_1341 Depth=1
	s_mov_b32 s14, -1
.LBB6_1347:                             ;   in Loop: Header=BB6_1341 Depth=1
	s_andn2_b32 vcc_lo, exec_lo, s14
	s_mov_b32 s18, 0
	s_cbranch_vccnz .LBB6_1349
; %bb.1348:                             ;   in Loop: Header=BB6_1341 Depth=1
	global_load_dwordx2 v[8:9], v3, s[8:9]
	s_add_i32 s18, s12, -8
.LBB6_1349:                             ;   in Loop: Header=BB6_1341 Depth=1
	s_add_u32 s14, s4, 8
	s_addc_u32 s15, s5, 0
	s_cmp_gt_u32 s18, 7
	s_cbranch_scc1 .LBB6_1354
; %bb.1350:                             ;   in Loop: Header=BB6_1341 Depth=1
	v_mov_b32_e32 v10, 0
	v_mov_b32_e32 v11, 0
	s_cmp_eq_u32 s18, 0
	s_cbranch_scc1 .LBB6_1353
; %bb.1351:                             ;   in Loop: Header=BB6_1341 Depth=1
	s_mov_b64 s[14:15], 0
	s_mov_b64 s[16:17], 0
.LBB6_1352:                             ;   Parent Loop BB6_1341 Depth=1
                                        ; =>  This Inner Loop Header: Depth=2
	s_add_u32 s24, s4, s16
	s_addc_u32 s25, s5, s17
	s_add_u32 s16, s16, 1
	global_load_ubyte v2, v3, s[24:25]
	s_addc_u32 s17, s17, 0
	s_waitcnt vmcnt(0)
	v_and_b32_e32 v2, 0xffff, v2
	v_lshlrev_b64 v[12:13], s14, v[2:3]
	s_add_u32 s14, s14, 8
	s_addc_u32 s15, s15, 0
	s_cmp_lg_u32 s18, s16
	v_or_b32_e32 v10, v12, v10
	v_or_b32_e32 v11, v13, v11
	s_cbranch_scc1 .LBB6_1352
.LBB6_1353:                             ;   in Loop: Header=BB6_1341 Depth=1
	s_mov_b32 s16, 0
	s_mov_b64 s[14:15], s[4:5]
	s_branch .LBB6_1355
.LBB6_1354:                             ;   in Loop: Header=BB6_1341 Depth=1
	s_mov_b32 s16, -1
                                        ; implicit-def: $vgpr10_vgpr11
.LBB6_1355:                             ;   in Loop: Header=BB6_1341 Depth=1
	s_andn2_b32 vcc_lo, exec_lo, s16
	s_mov_b32 s19, 0
	s_cbranch_vccnz .LBB6_1357
; %bb.1356:                             ;   in Loop: Header=BB6_1341 Depth=1
	global_load_dwordx2 v[10:11], v3, s[4:5]
	s_add_i32 s19, s18, -8
.LBB6_1357:                             ;   in Loop: Header=BB6_1341 Depth=1
	s_add_u32 s4, s14, 8
	s_addc_u32 s5, s15, 0
	s_cmp_gt_u32 s19, 7
	s_cbranch_scc1 .LBB6_1362
; %bb.1358:                             ;   in Loop: Header=BB6_1341 Depth=1
	v_mov_b32_e32 v12, 0
	v_mov_b32_e32 v13, 0
	s_cmp_eq_u32 s19, 0
	s_cbranch_scc1 .LBB6_1361
; %bb.1359:                             ;   in Loop: Header=BB6_1341 Depth=1
	s_mov_b64 s[4:5], 0
	s_mov_b64 s[16:17], 0
.LBB6_1360:                             ;   Parent Loop BB6_1341 Depth=1
                                        ; =>  This Inner Loop Header: Depth=2
	s_add_u32 s24, s14, s16
	s_addc_u32 s25, s15, s17
	s_add_u32 s16, s16, 1
	global_load_ubyte v2, v3, s[24:25]
	s_addc_u32 s17, s17, 0
	s_waitcnt vmcnt(0)
	v_and_b32_e32 v2, 0xffff, v2
	v_lshlrev_b64 v[14:15], s4, v[2:3]
	s_add_u32 s4, s4, 8
	s_addc_u32 s5, s5, 0
	s_cmp_lg_u32 s19, s16
	v_or_b32_e32 v12, v14, v12
	v_or_b32_e32 v13, v15, v13
	s_cbranch_scc1 .LBB6_1360
.LBB6_1361:                             ;   in Loop: Header=BB6_1341 Depth=1
	s_mov_b32 s16, 0
	s_mov_b64 s[4:5], s[14:15]
	s_branch .LBB6_1363
.LBB6_1362:                             ;   in Loop: Header=BB6_1341 Depth=1
	s_mov_b32 s16, -1
.LBB6_1363:                             ;   in Loop: Header=BB6_1341 Depth=1
	s_andn2_b32 vcc_lo, exec_lo, s16
	s_mov_b32 s18, 0
	s_cbranch_vccnz .LBB6_1365
; %bb.1364:                             ;   in Loop: Header=BB6_1341 Depth=1
	global_load_dwordx2 v[12:13], v3, s[14:15]
	s_add_i32 s18, s19, -8
.LBB6_1365:                             ;   in Loop: Header=BB6_1341 Depth=1
	s_add_u32 s14, s4, 8
	s_addc_u32 s15, s5, 0
	s_cmp_gt_u32 s18, 7
	s_cbranch_scc1 .LBB6_1370
; %bb.1366:                             ;   in Loop: Header=BB6_1341 Depth=1
	v_mov_b32_e32 v14, 0
	v_mov_b32_e32 v15, 0
	s_cmp_eq_u32 s18, 0
	s_cbranch_scc1 .LBB6_1369
; %bb.1367:                             ;   in Loop: Header=BB6_1341 Depth=1
	s_mov_b64 s[14:15], 0
	s_mov_b64 s[16:17], 0
.LBB6_1368:                             ;   Parent Loop BB6_1341 Depth=1
                                        ; =>  This Inner Loop Header: Depth=2
	s_add_u32 s24, s4, s16
	s_addc_u32 s25, s5, s17
	s_add_u32 s16, s16, 1
	global_load_ubyte v2, v3, s[24:25]
	s_addc_u32 s17, s17, 0
	s_waitcnt vmcnt(0)
	v_and_b32_e32 v2, 0xffff, v2
	v_lshlrev_b64 v[16:17], s14, v[2:3]
	s_add_u32 s14, s14, 8
	s_addc_u32 s15, s15, 0
	s_cmp_lg_u32 s18, s16
	v_or_b32_e32 v14, v16, v14
	v_or_b32_e32 v15, v17, v15
	s_cbranch_scc1 .LBB6_1368
.LBB6_1369:                             ;   in Loop: Header=BB6_1341 Depth=1
	s_mov_b32 s16, 0
	s_mov_b64 s[14:15], s[4:5]
	s_branch .LBB6_1371
.LBB6_1370:                             ;   in Loop: Header=BB6_1341 Depth=1
	s_mov_b32 s16, -1
                                        ; implicit-def: $vgpr14_vgpr15
.LBB6_1371:                             ;   in Loop: Header=BB6_1341 Depth=1
	s_andn2_b32 vcc_lo, exec_lo, s16
	s_mov_b32 s19, 0
	s_cbranch_vccnz .LBB6_1373
; %bb.1372:                             ;   in Loop: Header=BB6_1341 Depth=1
	global_load_dwordx2 v[14:15], v3, s[4:5]
	s_add_i32 s19, s18, -8
.LBB6_1373:                             ;   in Loop: Header=BB6_1341 Depth=1
	s_add_u32 s4, s14, 8
	s_addc_u32 s5, s15, 0
	s_cmp_gt_u32 s19, 7
	s_cbranch_scc1 .LBB6_1378
; %bb.1374:                             ;   in Loop: Header=BB6_1341 Depth=1
	v_mov_b32_e32 v16, 0
	v_mov_b32_e32 v17, 0
	s_cmp_eq_u32 s19, 0
	s_cbranch_scc1 .LBB6_1377
; %bb.1375:                             ;   in Loop: Header=BB6_1341 Depth=1
	s_mov_b64 s[4:5], 0
	s_mov_b64 s[16:17], 0
.LBB6_1376:                             ;   Parent Loop BB6_1341 Depth=1
                                        ; =>  This Inner Loop Header: Depth=2
	s_add_u32 s24, s14, s16
	s_addc_u32 s25, s15, s17
	s_add_u32 s16, s16, 1
	global_load_ubyte v2, v3, s[24:25]
	s_addc_u32 s17, s17, 0
	s_waitcnt vmcnt(0)
	v_and_b32_e32 v2, 0xffff, v2
	v_lshlrev_b64 v[18:19], s4, v[2:3]
	s_add_u32 s4, s4, 8
	s_addc_u32 s5, s5, 0
	s_cmp_lg_u32 s19, s16
	v_or_b32_e32 v16, v18, v16
	v_or_b32_e32 v17, v19, v17
	s_cbranch_scc1 .LBB6_1376
.LBB6_1377:                             ;   in Loop: Header=BB6_1341 Depth=1
	s_mov_b32 s16, 0
	s_mov_b64 s[4:5], s[14:15]
	s_branch .LBB6_1379
.LBB6_1378:                             ;   in Loop: Header=BB6_1341 Depth=1
	s_mov_b32 s16, -1
.LBB6_1379:                             ;   in Loop: Header=BB6_1341 Depth=1
	s_andn2_b32 vcc_lo, exec_lo, s16
	s_mov_b32 s18, 0
	s_cbranch_vccnz .LBB6_1381
; %bb.1380:                             ;   in Loop: Header=BB6_1341 Depth=1
	global_load_dwordx2 v[16:17], v3, s[14:15]
	s_add_i32 s18, s19, -8
.LBB6_1381:                             ;   in Loop: Header=BB6_1341 Depth=1
	s_add_u32 s14, s4, 8
	s_addc_u32 s15, s5, 0
	s_cmp_gt_u32 s18, 7
	s_cbranch_scc1 .LBB6_1386
; %bb.1382:                             ;   in Loop: Header=BB6_1341 Depth=1
	v_mov_b32_e32 v18, 0
	v_mov_b32_e32 v19, 0
	s_cmp_eq_u32 s18, 0
	s_cbranch_scc1 .LBB6_1385
; %bb.1383:                             ;   in Loop: Header=BB6_1341 Depth=1
	s_mov_b64 s[14:15], 0
	s_mov_b64 s[16:17], 0
.LBB6_1384:                             ;   Parent Loop BB6_1341 Depth=1
                                        ; =>  This Inner Loop Header: Depth=2
	s_add_u32 s24, s4, s16
	s_addc_u32 s25, s5, s17
	s_add_u32 s16, s16, 1
	global_load_ubyte v2, v3, s[24:25]
	s_addc_u32 s17, s17, 0
	s_waitcnt vmcnt(0)
	v_and_b32_e32 v2, 0xffff, v2
	v_lshlrev_b64 v[20:21], s14, v[2:3]
	s_add_u32 s14, s14, 8
	s_addc_u32 s15, s15, 0
	s_cmp_lg_u32 s18, s16
	v_or_b32_e32 v18, v20, v18
	v_or_b32_e32 v19, v21, v19
	s_cbranch_scc1 .LBB6_1384
.LBB6_1385:                             ;   in Loop: Header=BB6_1341 Depth=1
	s_mov_b32 s16, 0
	s_mov_b64 s[14:15], s[4:5]
	s_branch .LBB6_1387
.LBB6_1386:                             ;   in Loop: Header=BB6_1341 Depth=1
	s_mov_b32 s16, -1
                                        ; implicit-def: $vgpr18_vgpr19
.LBB6_1387:                             ;   in Loop: Header=BB6_1341 Depth=1
	s_andn2_b32 vcc_lo, exec_lo, s16
	s_mov_b32 s19, 0
	s_cbranch_vccnz .LBB6_1389
; %bb.1388:                             ;   in Loop: Header=BB6_1341 Depth=1
	global_load_dwordx2 v[18:19], v3, s[4:5]
	s_add_i32 s19, s18, -8
.LBB6_1389:                             ;   in Loop: Header=BB6_1341 Depth=1
	s_cmp_gt_u32 s19, 7
	s_cbranch_scc1 .LBB6_1394
; %bb.1390:                             ;   in Loop: Header=BB6_1341 Depth=1
	v_mov_b32_e32 v20, 0
	v_mov_b32_e32 v21, 0
	s_cmp_eq_u32 s19, 0
	s_cbranch_scc1 .LBB6_1393
; %bb.1391:                             ;   in Loop: Header=BB6_1341 Depth=1
	s_mov_b64 s[4:5], 0
	s_mov_b64 s[16:17], s[14:15]
.LBB6_1392:                             ;   Parent Loop BB6_1341 Depth=1
                                        ; =>  This Inner Loop Header: Depth=2
	global_load_ubyte v2, v3, s[16:17]
	s_add_i32 s19, s19, -1
	s_waitcnt vmcnt(0)
	v_and_b32_e32 v2, 0xffff, v2
	v_lshlrev_b64 v[22:23], s4, v[2:3]
	s_add_u32 s4, s4, 8
	s_addc_u32 s5, s5, 0
	s_add_u32 s16, s16, 1
	s_addc_u32 s17, s17, 0
	s_cmp_lg_u32 s19, 0
	v_or_b32_e32 v20, v22, v20
	v_or_b32_e32 v21, v23, v21
	s_cbranch_scc1 .LBB6_1392
.LBB6_1393:                             ;   in Loop: Header=BB6_1341 Depth=1
	s_mov_b32 s4, 0
	s_branch .LBB6_1395
.LBB6_1394:                             ;   in Loop: Header=BB6_1341 Depth=1
	s_mov_b32 s4, -1
.LBB6_1395:                             ;   in Loop: Header=BB6_1341 Depth=1
	s_andn2_b32 vcc_lo, exec_lo, s4
	s_cbranch_vccnz .LBB6_1397
; %bb.1396:                             ;   in Loop: Header=BB6_1341 Depth=1
	global_load_dwordx2 v[20:21], v3, s[14:15]
.LBB6_1397:                             ;   in Loop: Header=BB6_1341 Depth=1
	v_readfirstlane_b32 s4, v29
	v_mov_b32_e32 v26, 0
	v_mov_b32_e32 v27, 0
	v_cmp_eq_u32_e64 s4, s4, v29
	s_and_saveexec_b32 s5, s4
	s_cbranch_execz .LBB6_1403
; %bb.1398:                             ;   in Loop: Header=BB6_1341 Depth=1
	global_load_dwordx2 v[24:25], v3, s[6:7] offset:24 glc dlc
	s_waitcnt vmcnt(0)
	buffer_gl1_inv
	buffer_gl0_inv
	s_clause 0x1
	global_load_dwordx2 v[22:23], v3, s[6:7] offset:40
	global_load_dwordx2 v[26:27], v3, s[6:7]
	s_mov_b32 s14, exec_lo
	s_waitcnt vmcnt(1)
	v_and_b32_e32 v2, v23, v25
	v_and_b32_e32 v22, v22, v24
	v_mul_lo_u32 v2, v2, 24
	v_mul_hi_u32 v23, v22, 24
	v_mul_lo_u32 v22, v22, 24
	v_add_nc_u32_e32 v2, v23, v2
	s_waitcnt vmcnt(0)
	v_add_co_u32 v22, vcc_lo, v26, v22
	v_add_co_ci_u32_e64 v23, null, v27, v2, vcc_lo
	global_load_dwordx2 v[22:23], v[22:23], off glc dlc
	s_waitcnt vmcnt(0)
	global_atomic_cmpswap_x2 v[26:27], v3, v[22:25], s[6:7] offset:24 glc
	s_waitcnt vmcnt(0)
	buffer_gl1_inv
	buffer_gl0_inv
	v_cmpx_ne_u64_e64 v[26:27], v[24:25]
	s_cbranch_execz .LBB6_1402
; %bb.1399:                             ;   in Loop: Header=BB6_1341 Depth=1
	s_mov_b32 s15, 0
.LBB6_1400:                             ;   Parent Loop BB6_1341 Depth=1
                                        ; =>  This Inner Loop Header: Depth=2
	s_sleep 1
	s_clause 0x1
	global_load_dwordx2 v[22:23], v3, s[6:7] offset:40
	global_load_dwordx2 v[30:31], v3, s[6:7]
	v_mov_b32_e32 v24, v26
	v_mov_b32_e32 v25, v27
	s_waitcnt vmcnt(1)
	v_and_b32_e32 v2, v22, v24
	v_and_b32_e32 v22, v23, v25
	s_waitcnt vmcnt(0)
	v_mad_u64_u32 v[26:27], null, v2, 24, v[30:31]
	v_mov_b32_e32 v2, v27
	v_mad_u64_u32 v[22:23], null, v22, 24, v[2:3]
	v_mov_b32_e32 v27, v22
	global_load_dwordx2 v[22:23], v[26:27], off glc dlc
	s_waitcnt vmcnt(0)
	global_atomic_cmpswap_x2 v[26:27], v3, v[22:25], s[6:7] offset:24 glc
	s_waitcnt vmcnt(0)
	buffer_gl1_inv
	buffer_gl0_inv
	v_cmp_eq_u64_e32 vcc_lo, v[26:27], v[24:25]
	s_or_b32 s15, vcc_lo, s15
	s_andn2_b32 exec_lo, exec_lo, s15
	s_cbranch_execnz .LBB6_1400
; %bb.1401:                             ;   in Loop: Header=BB6_1341 Depth=1
	s_or_b32 exec_lo, exec_lo, s15
.LBB6_1402:                             ;   in Loop: Header=BB6_1341 Depth=1
	s_or_b32 exec_lo, exec_lo, s14
.LBB6_1403:                             ;   in Loop: Header=BB6_1341 Depth=1
	s_or_b32 exec_lo, exec_lo, s5
	s_clause 0x1
	global_load_dwordx2 v[30:31], v3, s[6:7] offset:40
	global_load_dwordx4 v[22:25], v3, s[6:7]
	v_readfirstlane_b32 s15, v27
	v_readfirstlane_b32 s14, v26
	s_mov_b32 s5, exec_lo
	s_waitcnt vmcnt(1)
	v_readfirstlane_b32 s16, v30
	v_readfirstlane_b32 s17, v31
	s_and_b64 s[16:17], s[16:17], s[14:15]
	s_mul_i32 s18, s17, 24
	s_mul_hi_u32 s19, s16, 24
	s_mul_i32 s20, s16, 24
	s_add_i32 s19, s19, s18
	s_waitcnt vmcnt(0)
	v_add_co_u32 v26, vcc_lo, v22, s20
	v_add_co_ci_u32_e64 v27, null, s19, v23, vcc_lo
	s_and_saveexec_b32 s18, s4
	s_cbranch_execz .LBB6_1405
; %bb.1404:                             ;   in Loop: Header=BB6_1341 Depth=1
	v_mov_b32_e32 v2, s5
	global_store_dwordx4 v[26:27], v[2:5], off offset:8
.LBB6_1405:                             ;   in Loop: Header=BB6_1341 Depth=1
	s_or_b32 exec_lo, exec_lo, s18
	v_cmp_gt_u64_e64 s5, s[10:11], 56
	s_lshl_b64 s[16:17], s[16:17], 12
	v_and_b32_e32 v2, 0xffffff1f, v6
	v_add_co_u32 v24, vcc_lo, v24, s16
	v_add_co_ci_u32_e64 v25, null, s17, v25, vcc_lo
	s_and_b32 s5, s5, exec_lo
	s_cselect_b32 s5, 0, 2
	s_lshl_b32 s18, s12, 2
	v_or_b32_e32 v2, s5, v2
	v_readfirstlane_b32 s16, v24
	v_readfirstlane_b32 s17, v25
	s_add_i32 s18, s18, 28
	v_and_or_b32 v6, 0x1e0, s18, v2
	global_store_dwordx4 v28, v[10:13], s[16:17] offset:16
	global_store_dwordx4 v28, v[14:17], s[16:17] offset:32
	global_store_dwordx4 v28, v[6:9], s[16:17]
	global_store_dwordx4 v28, v[18:21], s[16:17] offset:48
	s_and_saveexec_b32 s5, s4
	s_cbranch_execz .LBB6_1413
; %bb.1406:                             ;   in Loop: Header=BB6_1341 Depth=1
	s_clause 0x1
	global_load_dwordx2 v[14:15], v3, s[6:7] offset:32 glc dlc
	global_load_dwordx2 v[6:7], v3, s[6:7] offset:40
	v_mov_b32_e32 v12, s14
	v_mov_b32_e32 v13, s15
	s_waitcnt vmcnt(0)
	v_readfirstlane_b32 s16, v6
	v_readfirstlane_b32 s17, v7
	s_and_b64 s[16:17], s[16:17], s[14:15]
	s_mul_i32 s17, s17, 24
	s_mul_hi_u32 s18, s16, 24
	s_mul_i32 s16, s16, 24
	s_add_i32 s18, s18, s17
	v_add_co_u32 v10, vcc_lo, v22, s16
	v_add_co_ci_u32_e64 v11, null, s18, v23, vcc_lo
	s_mov_b32 s16, exec_lo
	global_store_dwordx2 v[10:11], v[14:15], off
	s_waitcnt_vscnt null, 0x0
	global_atomic_cmpswap_x2 v[8:9], v3, v[12:15], s[6:7] offset:32 glc
	s_waitcnt vmcnt(0)
	v_cmpx_ne_u64_e64 v[8:9], v[14:15]
	s_cbranch_execz .LBB6_1409
; %bb.1407:                             ;   in Loop: Header=BB6_1341 Depth=1
	s_mov_b32 s17, 0
.LBB6_1408:                             ;   Parent Loop BB6_1341 Depth=1
                                        ; =>  This Inner Loop Header: Depth=2
	v_mov_b32_e32 v6, s14
	v_mov_b32_e32 v7, s15
	s_sleep 1
	global_store_dwordx2 v[10:11], v[8:9], off
	s_waitcnt_vscnt null, 0x0
	global_atomic_cmpswap_x2 v[6:7], v3, v[6:9], s[6:7] offset:32 glc
	s_waitcnt vmcnt(0)
	v_cmp_eq_u64_e32 vcc_lo, v[6:7], v[8:9]
	v_mov_b32_e32 v9, v7
	v_mov_b32_e32 v8, v6
	s_or_b32 s17, vcc_lo, s17
	s_andn2_b32 exec_lo, exec_lo, s17
	s_cbranch_execnz .LBB6_1408
.LBB6_1409:                             ;   in Loop: Header=BB6_1341 Depth=1
	s_or_b32 exec_lo, exec_lo, s16
	global_load_dwordx2 v[6:7], v3, s[6:7] offset:16
	s_mov_b32 s17, exec_lo
	s_mov_b32 s16, exec_lo
	v_mbcnt_lo_u32_b32 v2, s17, 0
	v_cmpx_eq_u32_e32 0, v2
	s_cbranch_execz .LBB6_1411
; %bb.1410:                             ;   in Loop: Header=BB6_1341 Depth=1
	s_bcnt1_i32_b32 s17, s17
	v_mov_b32_e32 v2, s17
	s_waitcnt vmcnt(0)
	global_atomic_add_x2 v[6:7], v[2:3], off offset:8
.LBB6_1411:                             ;   in Loop: Header=BB6_1341 Depth=1
	s_or_b32 exec_lo, exec_lo, s16
	s_waitcnt vmcnt(0)
	global_load_dwordx2 v[8:9], v[6:7], off offset:16
	s_waitcnt vmcnt(0)
	v_cmp_eq_u64_e32 vcc_lo, 0, v[8:9]
	s_cbranch_vccnz .LBB6_1413
; %bb.1412:                             ;   in Loop: Header=BB6_1341 Depth=1
	global_load_dword v2, v[6:7], off offset:24
	s_waitcnt vmcnt(0)
	v_readfirstlane_b32 s16, v2
	s_waitcnt_vscnt null, 0x0
	global_store_dwordx2 v[8:9], v[2:3], off
	s_and_b32 m0, s16, 0x7fffff
	s_sendmsg sendmsg(MSG_INTERRUPT)
.LBB6_1413:                             ;   in Loop: Header=BB6_1341 Depth=1
	s_or_b32 exec_lo, exec_lo, s5
	v_add_co_u32 v6, vcc_lo, v24, v28
	v_add_co_ci_u32_e64 v7, null, 0, v25, vcc_lo
	s_branch .LBB6_1417
.LBB6_1414:                             ;   in Loop: Header=BB6_1417 Depth=2
	s_or_b32 exec_lo, exec_lo, s5
	v_readfirstlane_b32 s5, v2
	s_cmp_eq_u32 s5, 0
	s_cbranch_scc1 .LBB6_1416
; %bb.1415:                             ;   in Loop: Header=BB6_1417 Depth=2
	s_sleep 1
	s_cbranch_execnz .LBB6_1417
	s_branch .LBB6_1419
.LBB6_1416:                             ;   in Loop: Header=BB6_1341 Depth=1
	s_branch .LBB6_1419
.LBB6_1417:                             ;   Parent Loop BB6_1341 Depth=1
                                        ; =>  This Inner Loop Header: Depth=2
	v_mov_b32_e32 v2, 1
	s_and_saveexec_b32 s5, s4
	s_cbranch_execz .LBB6_1414
; %bb.1418:                             ;   in Loop: Header=BB6_1417 Depth=2
	global_load_dword v2, v[26:27], off offset:20 glc dlc
	s_waitcnt vmcnt(0)
	buffer_gl1_inv
	buffer_gl0_inv
	v_and_b32_e32 v2, 1, v2
	s_branch .LBB6_1414
.LBB6_1419:                             ;   in Loop: Header=BB6_1341 Depth=1
	global_load_dwordx4 v[6:9], v[6:7], off
	s_and_saveexec_b32 s16, s4
	s_cbranch_execz .LBB6_1340
; %bb.1420:                             ;   in Loop: Header=BB6_1341 Depth=1
	s_clause 0x2
	global_load_dwordx2 v[8:9], v3, s[6:7] offset:40
	global_load_dwordx2 v[16:17], v3, s[6:7] offset:24 glc dlc
	global_load_dwordx2 v[10:11], v3, s[6:7]
	s_waitcnt vmcnt(2)
	v_readfirstlane_b32 s18, v8
	v_readfirstlane_b32 s19, v9
	s_add_u32 s17, s18, 1
	s_addc_u32 s20, s19, 0
	s_add_u32 s4, s17, s14
	s_addc_u32 s5, s20, s15
	s_cmp_eq_u64 s[4:5], 0
	s_cselect_b32 s5, s20, s5
	s_cselect_b32 s4, s17, s4
	v_mov_b32_e32 v15, s5
	s_and_b64 s[14:15], s[4:5], s[18:19]
	v_mov_b32_e32 v14, s4
	s_mul_i32 s15, s15, 24
	s_mul_hi_u32 s17, s14, 24
	s_mul_i32 s14, s14, 24
	s_add_i32 s17, s17, s15
	s_waitcnt vmcnt(0)
	v_add_co_u32 v12, vcc_lo, v10, s14
	v_add_co_ci_u32_e64 v13, null, s17, v11, vcc_lo
	global_store_dwordx2 v[12:13], v[16:17], off
	s_waitcnt_vscnt null, 0x0
	global_atomic_cmpswap_x2 v[10:11], v3, v[14:17], s[6:7] offset:24 glc
	s_waitcnt vmcnt(0)
	v_cmp_ne_u64_e32 vcc_lo, v[10:11], v[16:17]
	s_and_b32 exec_lo, exec_lo, vcc_lo
	s_cbranch_execz .LBB6_1340
; %bb.1421:                             ;   in Loop: Header=BB6_1341 Depth=1
	s_mov_b32 s14, 0
.LBB6_1422:                             ;   Parent Loop BB6_1341 Depth=1
                                        ; =>  This Inner Loop Header: Depth=2
	v_mov_b32_e32 v8, s4
	v_mov_b32_e32 v9, s5
	s_sleep 1
	global_store_dwordx2 v[12:13], v[10:11], off
	s_waitcnt_vscnt null, 0x0
	global_atomic_cmpswap_x2 v[8:9], v3, v[8:11], s[6:7] offset:24 glc
	s_waitcnt vmcnt(0)
	v_cmp_eq_u64_e32 vcc_lo, v[8:9], v[10:11]
	v_mov_b32_e32 v11, v9
	v_mov_b32_e32 v10, v8
	s_or_b32 s14, vcc_lo, s14
	s_andn2_b32 exec_lo, exec_lo, s14
	s_cbranch_execnz .LBB6_1422
	s_branch .LBB6_1340
.LBB6_1423:
	s_mov_b32 s4, 0
	s_branch .LBB6_1425
.LBB6_1424:
	s_mov_b32 s4, -1
.LBB6_1425:
	s_and_b32 vcc_lo, exec_lo, s4
	s_cbranch_vccz .LBB6_1453
; %bb.1426:
	v_readfirstlane_b32 s4, v29
	s_waitcnt vmcnt(0)
	v_mov_b32_e32 v8, 0
	v_mov_b32_e32 v9, 0
	v_cmp_eq_u32_e64 s4, s4, v29
	s_and_saveexec_b32 s5, s4
	s_cbranch_execz .LBB6_1432
; %bb.1427:
	v_mov_b32_e32 v2, 0
	s_mov_b32 s8, exec_lo
	global_load_dwordx2 v[5:6], v2, s[6:7] offset:24 glc dlc
	s_waitcnt vmcnt(0)
	buffer_gl1_inv
	buffer_gl0_inv
	s_clause 0x1
	global_load_dwordx2 v[3:4], v2, s[6:7] offset:40
	global_load_dwordx2 v[7:8], v2, s[6:7]
	s_waitcnt vmcnt(1)
	v_and_b32_e32 v4, v4, v6
	v_and_b32_e32 v3, v3, v5
	v_mul_lo_u32 v4, v4, 24
	v_mul_hi_u32 v9, v3, 24
	v_mul_lo_u32 v3, v3, 24
	v_add_nc_u32_e32 v4, v9, v4
	s_waitcnt vmcnt(0)
	v_add_co_u32 v3, vcc_lo, v7, v3
	v_add_co_ci_u32_e64 v4, null, v8, v4, vcc_lo
	global_load_dwordx2 v[3:4], v[3:4], off glc dlc
	s_waitcnt vmcnt(0)
	global_atomic_cmpswap_x2 v[8:9], v2, v[3:6], s[6:7] offset:24 glc
	s_waitcnt vmcnt(0)
	buffer_gl1_inv
	buffer_gl0_inv
	v_cmpx_ne_u64_e64 v[8:9], v[5:6]
	s_cbranch_execz .LBB6_1431
; %bb.1428:
	s_mov_b32 s9, 0
.LBB6_1429:                             ; =>This Inner Loop Header: Depth=1
	s_sleep 1
	s_clause 0x1
	global_load_dwordx2 v[3:4], v2, s[6:7] offset:40
	global_load_dwordx2 v[10:11], v2, s[6:7]
	v_mov_b32_e32 v5, v8
	v_mov_b32_e32 v6, v9
	s_waitcnt vmcnt(1)
	v_and_b32_e32 v3, v3, v5
	v_and_b32_e32 v4, v4, v6
	s_waitcnt vmcnt(0)
	v_mad_u64_u32 v[7:8], null, v3, 24, v[10:11]
	v_mov_b32_e32 v3, v8
	v_mad_u64_u32 v[3:4], null, v4, 24, v[3:4]
	v_mov_b32_e32 v8, v3
	global_load_dwordx2 v[3:4], v[7:8], off glc dlc
	s_waitcnt vmcnt(0)
	global_atomic_cmpswap_x2 v[8:9], v2, v[3:6], s[6:7] offset:24 glc
	s_waitcnt vmcnt(0)
	buffer_gl1_inv
	buffer_gl0_inv
	v_cmp_eq_u64_e32 vcc_lo, v[8:9], v[5:6]
	s_or_b32 s9, vcc_lo, s9
	s_andn2_b32 exec_lo, exec_lo, s9
	s_cbranch_execnz .LBB6_1429
; %bb.1430:
	s_or_b32 exec_lo, exec_lo, s9
.LBB6_1431:
	s_or_b32 exec_lo, exec_lo, s8
.LBB6_1432:
	s_or_b32 exec_lo, exec_lo, s5
	v_mov_b32_e32 v2, 0
	v_readfirstlane_b32 s9, v9
	v_readfirstlane_b32 s8, v8
	s_mov_b32 s5, exec_lo
	s_clause 0x1
	global_load_dwordx2 v[10:11], v2, s[6:7] offset:40
	global_load_dwordx4 v[4:7], v2, s[6:7]
	s_waitcnt vmcnt(1)
	v_readfirstlane_b32 s10, v10
	v_readfirstlane_b32 s11, v11
	s_and_b64 s[10:11], s[10:11], s[8:9]
	s_mul_i32 s12, s11, 24
	s_mul_hi_u32 s13, s10, 24
	s_mul_i32 s14, s10, 24
	s_add_i32 s13, s13, s12
	s_waitcnt vmcnt(0)
	v_add_co_u32 v8, vcc_lo, v4, s14
	v_add_co_ci_u32_e64 v9, null, s13, v5, vcc_lo
	s_and_saveexec_b32 s12, s4
	s_cbranch_execz .LBB6_1434
; %bb.1433:
	v_mov_b32_e32 v10, s5
	v_mov_b32_e32 v11, v2
	;; [unrolled: 1-line block ×4, first 2 shown]
	global_store_dwordx4 v[8:9], v[10:13], off offset:8
.LBB6_1434:
	s_or_b32 exec_lo, exec_lo, s12
	s_lshl_b64 s[10:11], s[10:11], 12
	s_mov_b32 s12, 0
	v_add_co_u32 v6, vcc_lo, v6, s10
	v_add_co_ci_u32_e64 v7, null, s11, v7, vcc_lo
	s_mov_b32 s13, s12
	s_mov_b32 s14, s12
	;; [unrolled: 1-line block ×3, first 2 shown]
	v_and_or_b32 v0, 0xffffff1d, v0, 34
	v_mov_b32_e32 v3, v2
	v_readfirstlane_b32 s10, v6
	v_readfirstlane_b32 s11, v7
	v_mov_b32_e32 v10, s12
	v_mov_b32_e32 v11, s13
	v_mov_b32_e32 v12, s14
	v_mov_b32_e32 v13, s15
	global_store_dwordx4 v28, v[0:3], s[10:11]
	global_store_dwordx4 v28, v[10:13], s[10:11] offset:16
	global_store_dwordx4 v28, v[10:13], s[10:11] offset:32
	;; [unrolled: 1-line block ×3, first 2 shown]
	s_and_saveexec_b32 s5, s4
	s_cbranch_execz .LBB6_1442
; %bb.1435:
	v_mov_b32_e32 v6, 0
	v_mov_b32_e32 v10, s8
	v_mov_b32_e32 v11, s9
	s_clause 0x1
	global_load_dwordx2 v[12:13], v6, s[6:7] offset:32 glc dlc
	global_load_dwordx2 v[0:1], v6, s[6:7] offset:40
	s_waitcnt vmcnt(0)
	v_readfirstlane_b32 s10, v0
	v_readfirstlane_b32 s11, v1
	s_and_b64 s[10:11], s[10:11], s[8:9]
	s_mul_i32 s11, s11, 24
	s_mul_hi_u32 s12, s10, 24
	s_mul_i32 s10, s10, 24
	s_add_i32 s12, s12, s11
	v_add_co_u32 v4, vcc_lo, v4, s10
	v_add_co_ci_u32_e64 v5, null, s12, v5, vcc_lo
	s_mov_b32 s10, exec_lo
	global_store_dwordx2 v[4:5], v[12:13], off
	s_waitcnt_vscnt null, 0x0
	global_atomic_cmpswap_x2 v[2:3], v6, v[10:13], s[6:7] offset:32 glc
	s_waitcnt vmcnt(0)
	v_cmpx_ne_u64_e64 v[2:3], v[12:13]
	s_cbranch_execz .LBB6_1438
; %bb.1436:
	s_mov_b32 s11, 0
.LBB6_1437:                             ; =>This Inner Loop Header: Depth=1
	v_mov_b32_e32 v0, s8
	v_mov_b32_e32 v1, s9
	s_sleep 1
	global_store_dwordx2 v[4:5], v[2:3], off
	s_waitcnt_vscnt null, 0x0
	global_atomic_cmpswap_x2 v[0:1], v6, v[0:3], s[6:7] offset:32 glc
	s_waitcnt vmcnt(0)
	v_cmp_eq_u64_e32 vcc_lo, v[0:1], v[2:3]
	v_mov_b32_e32 v3, v1
	v_mov_b32_e32 v2, v0
	s_or_b32 s11, vcc_lo, s11
	s_andn2_b32 exec_lo, exec_lo, s11
	s_cbranch_execnz .LBB6_1437
.LBB6_1438:
	s_or_b32 exec_lo, exec_lo, s10
	v_mov_b32_e32 v3, 0
	s_mov_b32 s11, exec_lo
	s_mov_b32 s10, exec_lo
	v_mbcnt_lo_u32_b32 v2, s11, 0
	global_load_dwordx2 v[0:1], v3, s[6:7] offset:16
	v_cmpx_eq_u32_e32 0, v2
	s_cbranch_execz .LBB6_1440
; %bb.1439:
	s_bcnt1_i32_b32 s11, s11
	v_mov_b32_e32 v2, s11
	s_waitcnt vmcnt(0)
	global_atomic_add_x2 v[0:1], v[2:3], off offset:8
.LBB6_1440:
	s_or_b32 exec_lo, exec_lo, s10
	s_waitcnt vmcnt(0)
	global_load_dwordx2 v[2:3], v[0:1], off offset:16
	s_waitcnt vmcnt(0)
	v_cmp_eq_u64_e32 vcc_lo, 0, v[2:3]
	s_cbranch_vccnz .LBB6_1442
; %bb.1441:
	global_load_dword v0, v[0:1], off offset:24
	v_mov_b32_e32 v1, 0
	s_waitcnt vmcnt(0)
	v_readfirstlane_b32 s10, v0
	s_waitcnt_vscnt null, 0x0
	global_store_dwordx2 v[2:3], v[0:1], off
	s_and_b32 m0, s10, 0x7fffff
	s_sendmsg sendmsg(MSG_INTERRUPT)
.LBB6_1442:
	s_or_b32 exec_lo, exec_lo, s5
	s_branch .LBB6_1446
.LBB6_1443:                             ;   in Loop: Header=BB6_1446 Depth=1
	s_or_b32 exec_lo, exec_lo, s5
	v_readfirstlane_b32 s5, v0
	s_cmp_eq_u32 s5, 0
	s_cbranch_scc1 .LBB6_1445
; %bb.1444:                             ;   in Loop: Header=BB6_1446 Depth=1
	s_sleep 1
	s_cbranch_execnz .LBB6_1446
	s_branch .LBB6_1448
.LBB6_1445:
	s_branch .LBB6_1448
.LBB6_1446:                             ; =>This Inner Loop Header: Depth=1
	v_mov_b32_e32 v0, 1
	s_and_saveexec_b32 s5, s4
	s_cbranch_execz .LBB6_1443
; %bb.1447:                             ;   in Loop: Header=BB6_1446 Depth=1
	global_load_dword v0, v[8:9], off offset:20 glc dlc
	s_waitcnt vmcnt(0)
	buffer_gl1_inv
	buffer_gl0_inv
	v_and_b32_e32 v0, 1, v0
	s_branch .LBB6_1443
.LBB6_1448:
	s_and_saveexec_b32 s10, s4
	s_cbranch_execz .LBB6_1452
; %bb.1449:
	v_mov_b32_e32 v6, 0
	s_clause 0x2
	global_load_dwordx2 v[0:1], v6, s[6:7] offset:40
	global_load_dwordx2 v[9:10], v6, s[6:7] offset:24 glc dlc
	global_load_dwordx2 v[2:3], v6, s[6:7]
	s_waitcnt vmcnt(2)
	v_readfirstlane_b32 s12, v0
	v_readfirstlane_b32 s13, v1
	s_add_u32 s11, s12, 1
	s_addc_u32 s14, s13, 0
	s_add_u32 s4, s11, s8
	s_addc_u32 s5, s14, s9
	s_cmp_eq_u64 s[4:5], 0
	s_cselect_b32 s5, s14, s5
	s_cselect_b32 s4, s11, s4
	v_mov_b32_e32 v8, s5
	s_and_b64 s[8:9], s[4:5], s[12:13]
	v_mov_b32_e32 v7, s4
	s_mul_i32 s9, s9, 24
	s_mul_hi_u32 s11, s8, 24
	s_mul_i32 s8, s8, 24
	s_add_i32 s11, s11, s9
	s_waitcnt vmcnt(0)
	v_add_co_u32 v4, vcc_lo, v2, s8
	v_add_co_ci_u32_e64 v5, null, s11, v3, vcc_lo
	global_store_dwordx2 v[4:5], v[9:10], off
	s_waitcnt_vscnt null, 0x0
	global_atomic_cmpswap_x2 v[2:3], v6, v[7:10], s[6:7] offset:24 glc
	s_waitcnt vmcnt(0)
	v_cmp_ne_u64_e32 vcc_lo, v[2:3], v[9:10]
	s_and_b32 exec_lo, exec_lo, vcc_lo
	s_cbranch_execz .LBB6_1452
; %bb.1450:
	s_mov_b32 s8, 0
.LBB6_1451:                             ; =>This Inner Loop Header: Depth=1
	v_mov_b32_e32 v0, s4
	v_mov_b32_e32 v1, s5
	s_sleep 1
	global_store_dwordx2 v[4:5], v[2:3], off
	s_waitcnt_vscnt null, 0x0
	global_atomic_cmpswap_x2 v[0:1], v6, v[0:3], s[6:7] offset:24 glc
	s_waitcnt vmcnt(0)
	v_cmp_eq_u64_e32 vcc_lo, v[0:1], v[2:3]
	v_mov_b32_e32 v3, v1
	v_mov_b32_e32 v2, v0
	s_or_b32 s8, vcc_lo, s8
	s_andn2_b32 exec_lo, exec_lo, s8
	s_cbranch_execnz .LBB6_1451
.LBB6_1452:
	s_or_b32 exec_lo, exec_lo, s10
.LBB6_1453:
	s_getpc_b64 s[4:5]
	s_add_u32 s4, s4, .str.29@rel32@lo+4
	s_addc_u32 s5, s5, .str.29@rel32@hi+12
	s_getpc_b64 s[6:7]
	s_add_u32 s6, s6, .str.19@rel32@lo+4
	s_addc_u32 s7, s7, .str.19@rel32@hi+12
	s_getpc_b64 s[8:9]
	s_add_u32 s8, s8, __PRETTY_FUNCTION__._ZN7VecsMemIjLi8192EE5fetchEi@rel32@lo+4
	s_addc_u32 s9, s9, __PRETTY_FUNCTION__._ZN7VecsMemIjLi8192EE5fetchEi@rel32@hi+12
	s_waitcnt vmcnt(0)
	v_mov_b32_e32 v0, s4
	v_mov_b32_e32 v1, s5
	;; [unrolled: 1-line block ×7, first 2 shown]
	s_getpc_b64 s[10:11]
	s_add_u32 s10, s10, __assert_fail@rel32@lo+4
	s_addc_u32 s11, s11, __assert_fail@rel32@hi+12
	s_mov_b64 s[8:9], s[52:53]
	s_swappc_b64 s[30:31], s[10:11]
	s_or_b32 s22, s22, exec_lo
.LBB6_1454:
	s_or_b32 exec_lo, exec_lo, s23
	v_readlane_b32 s4, v59, 0
	s_and_b32 s5, s22, exec_lo
	s_and_b32 s21, s21, exec_lo
	s_andn2_b32 s4, s4, exec_lo
	s_or_b32 s22, s4, s5
	v_readlane_b32 s4, v59, 21
.LBB6_1455:
	s_andn2_saveexec_b32 s23, s4
	s_cbranch_execz .LBB6_1598
; %bb.1456:
	s_load_dwordx2 s[6:7], s[52:53], 0x50
	v_mbcnt_lo_u32_b32 v29, -1, 0
	v_mov_b32_e32 v6, 0
	v_mov_b32_e32 v7, 0
	v_readfirstlane_b32 s4, v29
	v_cmp_eq_u32_e64 s4, s4, v29
	s_and_saveexec_b32 s5, s4
	s_cbranch_execz .LBB6_1462
; %bb.1457:
	v_mov_b32_e32 v0, 0
	s_mov_b32 s8, exec_lo
	s_waitcnt lgkmcnt(0)
	global_load_dwordx2 v[3:4], v0, s[6:7] offset:24 glc dlc
	s_waitcnt vmcnt(0)
	buffer_gl1_inv
	buffer_gl0_inv
	s_clause 0x1
	global_load_dwordx2 v[1:2], v0, s[6:7] offset:40
	global_load_dwordx2 v[5:6], v0, s[6:7]
	s_waitcnt vmcnt(1)
	v_and_b32_e32 v2, v2, v4
	v_and_b32_e32 v1, v1, v3
	v_mul_lo_u32 v2, v2, 24
	v_mul_hi_u32 v7, v1, 24
	v_mul_lo_u32 v1, v1, 24
	v_add_nc_u32_e32 v2, v7, v2
	s_waitcnt vmcnt(0)
	v_add_co_u32 v1, vcc_lo, v5, v1
	v_add_co_ci_u32_e64 v2, null, v6, v2, vcc_lo
	global_load_dwordx2 v[1:2], v[1:2], off glc dlc
	s_waitcnt vmcnt(0)
	global_atomic_cmpswap_x2 v[6:7], v0, v[1:4], s[6:7] offset:24 glc
	s_waitcnt vmcnt(0)
	buffer_gl1_inv
	buffer_gl0_inv
	v_cmpx_ne_u64_e64 v[6:7], v[3:4]
	s_cbranch_execz .LBB6_1461
; %bb.1458:
	s_mov_b32 s9, 0
.LBB6_1459:                             ; =>This Inner Loop Header: Depth=1
	s_sleep 1
	s_clause 0x1
	global_load_dwordx2 v[1:2], v0, s[6:7] offset:40
	global_load_dwordx2 v[8:9], v0, s[6:7]
	v_mov_b32_e32 v3, v6
	v_mov_b32_e32 v4, v7
	s_waitcnt vmcnt(1)
	v_and_b32_e32 v1, v1, v3
	v_and_b32_e32 v2, v2, v4
	s_waitcnt vmcnt(0)
	v_mad_u64_u32 v[5:6], null, v1, 24, v[8:9]
	v_mov_b32_e32 v1, v6
	v_mad_u64_u32 v[1:2], null, v2, 24, v[1:2]
	v_mov_b32_e32 v6, v1
	global_load_dwordx2 v[1:2], v[5:6], off glc dlc
	s_waitcnt vmcnt(0)
	global_atomic_cmpswap_x2 v[6:7], v0, v[1:4], s[6:7] offset:24 glc
	s_waitcnt vmcnt(0)
	buffer_gl1_inv
	buffer_gl0_inv
	v_cmp_eq_u64_e32 vcc_lo, v[6:7], v[3:4]
	s_or_b32 s9, vcc_lo, s9
	s_andn2_b32 exec_lo, exec_lo, s9
	s_cbranch_execnz .LBB6_1459
; %bb.1460:
	s_or_b32 exec_lo, exec_lo, s9
.LBB6_1461:
	s_or_b32 exec_lo, exec_lo, s8
.LBB6_1462:
	s_or_b32 exec_lo, exec_lo, s5
	v_mov_b32_e32 v5, 0
	v_readfirstlane_b32 s9, v7
	v_readfirstlane_b32 s8, v6
	s_mov_b32 s5, exec_lo
	s_waitcnt lgkmcnt(0)
	s_clause 0x1
	global_load_dwordx2 v[8:9], v5, s[6:7] offset:40
	global_load_dwordx4 v[0:3], v5, s[6:7]
	s_waitcnt vmcnt(1)
	v_readfirstlane_b32 s10, v8
	v_readfirstlane_b32 s11, v9
	s_and_b64 s[10:11], s[10:11], s[8:9]
	s_mul_i32 s12, s11, 24
	s_mul_hi_u32 s13, s10, 24
	s_mul_i32 s14, s10, 24
	s_add_i32 s13, s13, s12
	s_waitcnt vmcnt(0)
	v_add_co_u32 v8, vcc_lo, v0, s14
	v_add_co_ci_u32_e64 v9, null, s13, v1, vcc_lo
	s_and_saveexec_b32 s12, s4
	s_cbranch_execz .LBB6_1464
; %bb.1463:
	v_mov_b32_e32 v4, s5
	v_mov_b32_e32 v6, 2
	;; [unrolled: 1-line block ×3, first 2 shown]
	global_store_dwordx4 v[8:9], v[4:7], off offset:8
.LBB6_1464:
	s_or_b32 exec_lo, exec_lo, s12
	s_lshl_b64 s[10:11], s[10:11], 12
	v_lshlrev_b32_e32 v28, 6, v29
	v_add_co_u32 v2, vcc_lo, v2, s10
	v_add_co_ci_u32_e64 v3, null, s11, v3, vcc_lo
	s_mov_b32 s12, 0
	v_add_co_u32 v10, vcc_lo, v2, v28
	s_mov_b32 s13, s12
	s_mov_b32 s14, s12
	;; [unrolled: 1-line block ×3, first 2 shown]
	v_mov_b32_e32 v4, 33
	v_mov_b32_e32 v6, v5
	;; [unrolled: 1-line block ×3, first 2 shown]
	v_readfirstlane_b32 s10, v2
	v_readfirstlane_b32 s11, v3
	v_mov_b32_e32 v12, s12
	v_add_co_ci_u32_e64 v11, null, 0, v3, vcc_lo
	v_mov_b32_e32 v13, s13
	v_mov_b32_e32 v14, s14
	;; [unrolled: 1-line block ×3, first 2 shown]
	global_store_dwordx4 v28, v[4:7], s[10:11]
	global_store_dwordx4 v28, v[12:15], s[10:11] offset:16
	global_store_dwordx4 v28, v[12:15], s[10:11] offset:32
	;; [unrolled: 1-line block ×3, first 2 shown]
	s_and_saveexec_b32 s5, s4
	s_cbranch_execz .LBB6_1472
; %bb.1465:
	v_mov_b32_e32 v6, 0
	v_mov_b32_e32 v12, s8
	;; [unrolled: 1-line block ×3, first 2 shown]
	s_mov_b32 s10, exec_lo
	s_clause 0x1
	global_load_dwordx2 v[14:15], v6, s[6:7] offset:32 glc dlc
	global_load_dwordx2 v[2:3], v6, s[6:7] offset:40
	s_waitcnt vmcnt(0)
	v_and_b32_e32 v3, s9, v3
	v_and_b32_e32 v2, s8, v2
	v_mul_lo_u32 v3, v3, 24
	v_mul_hi_u32 v4, v2, 24
	v_mul_lo_u32 v2, v2, 24
	v_add_nc_u32_e32 v3, v4, v3
	v_add_co_u32 v4, vcc_lo, v0, v2
	v_add_co_ci_u32_e64 v5, null, v1, v3, vcc_lo
	global_store_dwordx2 v[4:5], v[14:15], off
	s_waitcnt_vscnt null, 0x0
	global_atomic_cmpswap_x2 v[2:3], v6, v[12:15], s[6:7] offset:32 glc
	s_waitcnt vmcnt(0)
	v_cmpx_ne_u64_e64 v[2:3], v[14:15]
	s_cbranch_execz .LBB6_1468
; %bb.1466:
	s_mov_b32 s11, 0
.LBB6_1467:                             ; =>This Inner Loop Header: Depth=1
	v_mov_b32_e32 v0, s8
	v_mov_b32_e32 v1, s9
	s_sleep 1
	global_store_dwordx2 v[4:5], v[2:3], off
	s_waitcnt_vscnt null, 0x0
	global_atomic_cmpswap_x2 v[0:1], v6, v[0:3], s[6:7] offset:32 glc
	s_waitcnt vmcnt(0)
	v_cmp_eq_u64_e32 vcc_lo, v[0:1], v[2:3]
	v_mov_b32_e32 v3, v1
	v_mov_b32_e32 v2, v0
	s_or_b32 s11, vcc_lo, s11
	s_andn2_b32 exec_lo, exec_lo, s11
	s_cbranch_execnz .LBB6_1467
.LBB6_1468:
	s_or_b32 exec_lo, exec_lo, s10
	v_mov_b32_e32 v3, 0
	s_mov_b32 s11, exec_lo
	s_mov_b32 s10, exec_lo
	v_mbcnt_lo_u32_b32 v2, s11, 0
	global_load_dwordx2 v[0:1], v3, s[6:7] offset:16
	v_cmpx_eq_u32_e32 0, v2
	s_cbranch_execz .LBB6_1470
; %bb.1469:
	s_bcnt1_i32_b32 s11, s11
	v_mov_b32_e32 v2, s11
	s_waitcnt vmcnt(0)
	global_atomic_add_x2 v[0:1], v[2:3], off offset:8
.LBB6_1470:
	s_or_b32 exec_lo, exec_lo, s10
	s_waitcnt vmcnt(0)
	global_load_dwordx2 v[2:3], v[0:1], off offset:16
	s_waitcnt vmcnt(0)
	v_cmp_eq_u64_e32 vcc_lo, 0, v[2:3]
	s_cbranch_vccnz .LBB6_1472
; %bb.1471:
	global_load_dword v0, v[0:1], off offset:24
	v_mov_b32_e32 v1, 0
	s_waitcnt vmcnt(0)
	v_readfirstlane_b32 s10, v0
	s_waitcnt_vscnt null, 0x0
	global_store_dwordx2 v[2:3], v[0:1], off
	s_and_b32 m0, s10, 0x7fffff
	s_sendmsg sendmsg(MSG_INTERRUPT)
.LBB6_1472:
	s_or_b32 exec_lo, exec_lo, s5
	s_branch .LBB6_1476
.LBB6_1473:                             ;   in Loop: Header=BB6_1476 Depth=1
	s_or_b32 exec_lo, exec_lo, s5
	v_readfirstlane_b32 s5, v0
	s_cmp_eq_u32 s5, 0
	s_cbranch_scc1 .LBB6_1475
; %bb.1474:                             ;   in Loop: Header=BB6_1476 Depth=1
	s_sleep 1
	s_cbranch_execnz .LBB6_1476
	s_branch .LBB6_1478
.LBB6_1475:
	s_branch .LBB6_1478
.LBB6_1476:                             ; =>This Inner Loop Header: Depth=1
	v_mov_b32_e32 v0, 1
	s_and_saveexec_b32 s5, s4
	s_cbranch_execz .LBB6_1473
; %bb.1477:                             ;   in Loop: Header=BB6_1476 Depth=1
	global_load_dword v0, v[8:9], off offset:20 glc dlc
	s_waitcnt vmcnt(0)
	buffer_gl1_inv
	buffer_gl0_inv
	v_and_b32_e32 v0, 1, v0
	s_branch .LBB6_1473
.LBB6_1478:
	global_load_dwordx2 v[0:1], v[10:11], off
	s_and_saveexec_b32 s10, s4
	s_cbranch_execz .LBB6_1482
; %bb.1479:
	v_mov_b32_e32 v8, 0
	s_clause 0x2
	global_load_dwordx2 v[2:3], v8, s[6:7] offset:40
	global_load_dwordx2 v[11:12], v8, s[6:7] offset:24 glc dlc
	global_load_dwordx2 v[4:5], v8, s[6:7]
	s_waitcnt vmcnt(2)
	v_readfirstlane_b32 s12, v2
	v_readfirstlane_b32 s13, v3
	s_add_u32 s11, s12, 1
	s_addc_u32 s14, s13, 0
	s_add_u32 s4, s11, s8
	s_addc_u32 s5, s14, s9
	s_cmp_eq_u64 s[4:5], 0
	s_cselect_b32 s5, s14, s5
	s_cselect_b32 s4, s11, s4
	v_mov_b32_e32 v10, s5
	s_and_b64 s[8:9], s[4:5], s[12:13]
	v_mov_b32_e32 v9, s4
	s_mul_i32 s9, s9, 24
	s_mul_hi_u32 s11, s8, 24
	s_mul_i32 s8, s8, 24
	s_add_i32 s11, s11, s9
	s_waitcnt vmcnt(0)
	v_add_co_u32 v6, vcc_lo, v4, s8
	v_add_co_ci_u32_e64 v7, null, s11, v5, vcc_lo
	global_store_dwordx2 v[6:7], v[11:12], off
	s_waitcnt_vscnt null, 0x0
	global_atomic_cmpswap_x2 v[4:5], v8, v[9:12], s[6:7] offset:24 glc
	s_waitcnt vmcnt(0)
	v_cmp_ne_u64_e32 vcc_lo, v[4:5], v[11:12]
	s_and_b32 exec_lo, exec_lo, vcc_lo
	s_cbranch_execz .LBB6_1482
; %bb.1480:
	s_mov_b32 s8, 0
.LBB6_1481:                             ; =>This Inner Loop Header: Depth=1
	v_mov_b32_e32 v2, s4
	v_mov_b32_e32 v3, s5
	s_sleep 1
	global_store_dwordx2 v[6:7], v[4:5], off
	s_waitcnt_vscnt null, 0x0
	global_atomic_cmpswap_x2 v[2:3], v8, v[2:5], s[6:7] offset:24 glc
	s_waitcnt vmcnt(0)
	v_cmp_eq_u64_e32 vcc_lo, v[2:3], v[4:5]
	v_mov_b32_e32 v5, v3
	v_mov_b32_e32 v4, v2
	s_or_b32 s8, vcc_lo, s8
	s_andn2_b32 exec_lo, exec_lo, s8
	s_cbranch_execnz .LBB6_1481
.LBB6_1482:
	s_or_b32 exec_lo, exec_lo, s10
	s_getpc_b64 s[8:9]
	s_add_u32 s8, s8, .str.28@rel32@lo+4
	s_addc_u32 s9, s9, .str.28@rel32@hi+12
	s_cmp_lg_u64 s[8:9], 0
	s_cbranch_scc0 .LBB6_1568
; %bb.1483:
	s_waitcnt vmcnt(0)
	v_and_b32_e32 v6, -3, v0
	v_mov_b32_e32 v7, v1
	v_mov_b32_e32 v3, 0
	;; [unrolled: 1-line block ×4, first 2 shown]
	s_mov_b64 s[10:11], 35
	s_branch .LBB6_1485
.LBB6_1484:                             ;   in Loop: Header=BB6_1485 Depth=1
	s_or_b32 exec_lo, exec_lo, s16
	s_sub_u32 s10, s10, s12
	s_subb_u32 s11, s11, s13
	s_add_u32 s8, s8, s12
	s_addc_u32 s9, s9, s13
	s_cmp_lg_u64 s[10:11], 0
	s_cbranch_scc0 .LBB6_1567
.LBB6_1485:                             ; =>This Loop Header: Depth=1
                                        ;     Child Loop BB6_1488 Depth 2
                                        ;     Child Loop BB6_1496 Depth 2
	;; [unrolled: 1-line block ×11, first 2 shown]
	v_cmp_lt_u64_e64 s4, s[10:11], 56
	v_cmp_gt_u64_e64 s14, s[10:11], 7
	s_and_b32 s4, s4, exec_lo
	s_cselect_b32 s13, s11, 0
	s_cselect_b32 s12, s10, 56
	s_add_u32 s4, s8, 8
	s_addc_u32 s5, s9, 0
	s_and_b32 vcc_lo, exec_lo, s14
	s_cbranch_vccnz .LBB6_1490
; %bb.1486:                             ;   in Loop: Header=BB6_1485 Depth=1
	s_waitcnt vmcnt(0)
	v_mov_b32_e32 v8, 0
	v_mov_b32_e32 v9, 0
	s_cmp_eq_u64 s[10:11], 0
	s_cbranch_scc1 .LBB6_1489
; %bb.1487:                             ;   in Loop: Header=BB6_1485 Depth=1
	s_lshl_b64 s[4:5], s[12:13], 3
	s_mov_b64 s[14:15], 0
	s_mov_b64 s[16:17], s[8:9]
.LBB6_1488:                             ;   Parent Loop BB6_1485 Depth=1
                                        ; =>  This Inner Loop Header: Depth=2
	global_load_ubyte v2, v3, s[16:17]
	s_waitcnt vmcnt(0)
	v_and_b32_e32 v2, 0xffff, v2
	v_lshlrev_b64 v[10:11], s14, v[2:3]
	s_add_u32 s14, s14, 8
	s_addc_u32 s15, s15, 0
	s_add_u32 s16, s16, 1
	s_addc_u32 s17, s17, 0
	s_cmp_lg_u32 s4, s14
	v_or_b32_e32 v8, v10, v8
	v_or_b32_e32 v9, v11, v9
	s_cbranch_scc1 .LBB6_1488
.LBB6_1489:                             ;   in Loop: Header=BB6_1485 Depth=1
	s_mov_b32 s14, 0
	s_mov_b64 s[4:5], s[8:9]
	s_branch .LBB6_1491
.LBB6_1490:                             ;   in Loop: Header=BB6_1485 Depth=1
	s_mov_b32 s14, -1
.LBB6_1491:                             ;   in Loop: Header=BB6_1485 Depth=1
	s_andn2_b32 vcc_lo, exec_lo, s14
	s_mov_b32 s18, 0
	s_cbranch_vccnz .LBB6_1493
; %bb.1492:                             ;   in Loop: Header=BB6_1485 Depth=1
	global_load_dwordx2 v[8:9], v3, s[8:9]
	s_add_i32 s18, s12, -8
.LBB6_1493:                             ;   in Loop: Header=BB6_1485 Depth=1
	s_add_u32 s14, s4, 8
	s_addc_u32 s15, s5, 0
	s_cmp_gt_u32 s18, 7
	s_cbranch_scc1 .LBB6_1498
; %bb.1494:                             ;   in Loop: Header=BB6_1485 Depth=1
	v_mov_b32_e32 v10, 0
	v_mov_b32_e32 v11, 0
	s_cmp_eq_u32 s18, 0
	s_cbranch_scc1 .LBB6_1497
; %bb.1495:                             ;   in Loop: Header=BB6_1485 Depth=1
	s_mov_b64 s[14:15], 0
	s_mov_b64 s[16:17], 0
.LBB6_1496:                             ;   Parent Loop BB6_1485 Depth=1
                                        ; =>  This Inner Loop Header: Depth=2
	s_add_u32 s24, s4, s16
	s_addc_u32 s25, s5, s17
	s_add_u32 s16, s16, 1
	global_load_ubyte v2, v3, s[24:25]
	s_addc_u32 s17, s17, 0
	s_waitcnt vmcnt(0)
	v_and_b32_e32 v2, 0xffff, v2
	v_lshlrev_b64 v[12:13], s14, v[2:3]
	s_add_u32 s14, s14, 8
	s_addc_u32 s15, s15, 0
	s_cmp_lg_u32 s18, s16
	v_or_b32_e32 v10, v12, v10
	v_or_b32_e32 v11, v13, v11
	s_cbranch_scc1 .LBB6_1496
.LBB6_1497:                             ;   in Loop: Header=BB6_1485 Depth=1
	s_mov_b32 s16, 0
	s_mov_b64 s[14:15], s[4:5]
	s_branch .LBB6_1499
.LBB6_1498:                             ;   in Loop: Header=BB6_1485 Depth=1
	s_mov_b32 s16, -1
                                        ; implicit-def: $vgpr10_vgpr11
.LBB6_1499:                             ;   in Loop: Header=BB6_1485 Depth=1
	s_andn2_b32 vcc_lo, exec_lo, s16
	s_mov_b32 s19, 0
	s_cbranch_vccnz .LBB6_1501
; %bb.1500:                             ;   in Loop: Header=BB6_1485 Depth=1
	global_load_dwordx2 v[10:11], v3, s[4:5]
	s_add_i32 s19, s18, -8
.LBB6_1501:                             ;   in Loop: Header=BB6_1485 Depth=1
	s_add_u32 s4, s14, 8
	s_addc_u32 s5, s15, 0
	s_cmp_gt_u32 s19, 7
	s_cbranch_scc1 .LBB6_1506
; %bb.1502:                             ;   in Loop: Header=BB6_1485 Depth=1
	v_mov_b32_e32 v12, 0
	v_mov_b32_e32 v13, 0
	s_cmp_eq_u32 s19, 0
	s_cbranch_scc1 .LBB6_1505
; %bb.1503:                             ;   in Loop: Header=BB6_1485 Depth=1
	s_mov_b64 s[4:5], 0
	s_mov_b64 s[16:17], 0
.LBB6_1504:                             ;   Parent Loop BB6_1485 Depth=1
                                        ; =>  This Inner Loop Header: Depth=2
	s_add_u32 s24, s14, s16
	s_addc_u32 s25, s15, s17
	s_add_u32 s16, s16, 1
	global_load_ubyte v2, v3, s[24:25]
	s_addc_u32 s17, s17, 0
	s_waitcnt vmcnt(0)
	v_and_b32_e32 v2, 0xffff, v2
	v_lshlrev_b64 v[14:15], s4, v[2:3]
	s_add_u32 s4, s4, 8
	s_addc_u32 s5, s5, 0
	s_cmp_lg_u32 s19, s16
	v_or_b32_e32 v12, v14, v12
	v_or_b32_e32 v13, v15, v13
	s_cbranch_scc1 .LBB6_1504
.LBB6_1505:                             ;   in Loop: Header=BB6_1485 Depth=1
	s_mov_b32 s16, 0
	s_mov_b64 s[4:5], s[14:15]
	s_branch .LBB6_1507
.LBB6_1506:                             ;   in Loop: Header=BB6_1485 Depth=1
	s_mov_b32 s16, -1
.LBB6_1507:                             ;   in Loop: Header=BB6_1485 Depth=1
	s_andn2_b32 vcc_lo, exec_lo, s16
	s_mov_b32 s18, 0
	s_cbranch_vccnz .LBB6_1509
; %bb.1508:                             ;   in Loop: Header=BB6_1485 Depth=1
	global_load_dwordx2 v[12:13], v3, s[14:15]
	s_add_i32 s18, s19, -8
.LBB6_1509:                             ;   in Loop: Header=BB6_1485 Depth=1
	s_add_u32 s14, s4, 8
	s_addc_u32 s15, s5, 0
	s_cmp_gt_u32 s18, 7
	s_cbranch_scc1 .LBB6_1514
; %bb.1510:                             ;   in Loop: Header=BB6_1485 Depth=1
	v_mov_b32_e32 v14, 0
	v_mov_b32_e32 v15, 0
	s_cmp_eq_u32 s18, 0
	s_cbranch_scc1 .LBB6_1513
; %bb.1511:                             ;   in Loop: Header=BB6_1485 Depth=1
	s_mov_b64 s[14:15], 0
	s_mov_b64 s[16:17], 0
.LBB6_1512:                             ;   Parent Loop BB6_1485 Depth=1
                                        ; =>  This Inner Loop Header: Depth=2
	s_add_u32 s24, s4, s16
	s_addc_u32 s25, s5, s17
	s_add_u32 s16, s16, 1
	global_load_ubyte v2, v3, s[24:25]
	s_addc_u32 s17, s17, 0
	s_waitcnt vmcnt(0)
	v_and_b32_e32 v2, 0xffff, v2
	v_lshlrev_b64 v[16:17], s14, v[2:3]
	s_add_u32 s14, s14, 8
	s_addc_u32 s15, s15, 0
	s_cmp_lg_u32 s18, s16
	v_or_b32_e32 v14, v16, v14
	v_or_b32_e32 v15, v17, v15
	s_cbranch_scc1 .LBB6_1512
.LBB6_1513:                             ;   in Loop: Header=BB6_1485 Depth=1
	s_mov_b32 s16, 0
	s_mov_b64 s[14:15], s[4:5]
	s_branch .LBB6_1515
.LBB6_1514:                             ;   in Loop: Header=BB6_1485 Depth=1
	s_mov_b32 s16, -1
                                        ; implicit-def: $vgpr14_vgpr15
.LBB6_1515:                             ;   in Loop: Header=BB6_1485 Depth=1
	s_andn2_b32 vcc_lo, exec_lo, s16
	s_mov_b32 s19, 0
	s_cbranch_vccnz .LBB6_1517
; %bb.1516:                             ;   in Loop: Header=BB6_1485 Depth=1
	global_load_dwordx2 v[14:15], v3, s[4:5]
	s_add_i32 s19, s18, -8
.LBB6_1517:                             ;   in Loop: Header=BB6_1485 Depth=1
	s_add_u32 s4, s14, 8
	s_addc_u32 s5, s15, 0
	s_cmp_gt_u32 s19, 7
	s_cbranch_scc1 .LBB6_1522
; %bb.1518:                             ;   in Loop: Header=BB6_1485 Depth=1
	v_mov_b32_e32 v16, 0
	v_mov_b32_e32 v17, 0
	s_cmp_eq_u32 s19, 0
	s_cbranch_scc1 .LBB6_1521
; %bb.1519:                             ;   in Loop: Header=BB6_1485 Depth=1
	s_mov_b64 s[4:5], 0
	s_mov_b64 s[16:17], 0
.LBB6_1520:                             ;   Parent Loop BB6_1485 Depth=1
                                        ; =>  This Inner Loop Header: Depth=2
	s_add_u32 s24, s14, s16
	s_addc_u32 s25, s15, s17
	s_add_u32 s16, s16, 1
	global_load_ubyte v2, v3, s[24:25]
	s_addc_u32 s17, s17, 0
	s_waitcnt vmcnt(0)
	v_and_b32_e32 v2, 0xffff, v2
	v_lshlrev_b64 v[18:19], s4, v[2:3]
	s_add_u32 s4, s4, 8
	s_addc_u32 s5, s5, 0
	s_cmp_lg_u32 s19, s16
	v_or_b32_e32 v16, v18, v16
	v_or_b32_e32 v17, v19, v17
	s_cbranch_scc1 .LBB6_1520
.LBB6_1521:                             ;   in Loop: Header=BB6_1485 Depth=1
	s_mov_b32 s16, 0
	s_mov_b64 s[4:5], s[14:15]
	s_branch .LBB6_1523
.LBB6_1522:                             ;   in Loop: Header=BB6_1485 Depth=1
	s_mov_b32 s16, -1
.LBB6_1523:                             ;   in Loop: Header=BB6_1485 Depth=1
	s_andn2_b32 vcc_lo, exec_lo, s16
	s_mov_b32 s18, 0
	s_cbranch_vccnz .LBB6_1525
; %bb.1524:                             ;   in Loop: Header=BB6_1485 Depth=1
	global_load_dwordx2 v[16:17], v3, s[14:15]
	s_add_i32 s18, s19, -8
.LBB6_1525:                             ;   in Loop: Header=BB6_1485 Depth=1
	s_add_u32 s14, s4, 8
	s_addc_u32 s15, s5, 0
	s_cmp_gt_u32 s18, 7
	s_cbranch_scc1 .LBB6_1530
; %bb.1526:                             ;   in Loop: Header=BB6_1485 Depth=1
	v_mov_b32_e32 v18, 0
	v_mov_b32_e32 v19, 0
	s_cmp_eq_u32 s18, 0
	s_cbranch_scc1 .LBB6_1529
; %bb.1527:                             ;   in Loop: Header=BB6_1485 Depth=1
	s_mov_b64 s[14:15], 0
	s_mov_b64 s[16:17], 0
.LBB6_1528:                             ;   Parent Loop BB6_1485 Depth=1
                                        ; =>  This Inner Loop Header: Depth=2
	s_add_u32 s24, s4, s16
	s_addc_u32 s25, s5, s17
	s_add_u32 s16, s16, 1
	global_load_ubyte v2, v3, s[24:25]
	s_addc_u32 s17, s17, 0
	s_waitcnt vmcnt(0)
	v_and_b32_e32 v2, 0xffff, v2
	v_lshlrev_b64 v[20:21], s14, v[2:3]
	s_add_u32 s14, s14, 8
	s_addc_u32 s15, s15, 0
	s_cmp_lg_u32 s18, s16
	v_or_b32_e32 v18, v20, v18
	v_or_b32_e32 v19, v21, v19
	s_cbranch_scc1 .LBB6_1528
.LBB6_1529:                             ;   in Loop: Header=BB6_1485 Depth=1
	s_mov_b32 s16, 0
	s_mov_b64 s[14:15], s[4:5]
	s_branch .LBB6_1531
.LBB6_1530:                             ;   in Loop: Header=BB6_1485 Depth=1
	s_mov_b32 s16, -1
                                        ; implicit-def: $vgpr18_vgpr19
.LBB6_1531:                             ;   in Loop: Header=BB6_1485 Depth=1
	s_andn2_b32 vcc_lo, exec_lo, s16
	s_mov_b32 s19, 0
	s_cbranch_vccnz .LBB6_1533
; %bb.1532:                             ;   in Loop: Header=BB6_1485 Depth=1
	global_load_dwordx2 v[18:19], v3, s[4:5]
	s_add_i32 s19, s18, -8
.LBB6_1533:                             ;   in Loop: Header=BB6_1485 Depth=1
	s_cmp_gt_u32 s19, 7
	s_cbranch_scc1 .LBB6_1538
; %bb.1534:                             ;   in Loop: Header=BB6_1485 Depth=1
	v_mov_b32_e32 v20, 0
	v_mov_b32_e32 v21, 0
	s_cmp_eq_u32 s19, 0
	s_cbranch_scc1 .LBB6_1537
; %bb.1535:                             ;   in Loop: Header=BB6_1485 Depth=1
	s_mov_b64 s[4:5], 0
	s_mov_b64 s[16:17], s[14:15]
.LBB6_1536:                             ;   Parent Loop BB6_1485 Depth=1
                                        ; =>  This Inner Loop Header: Depth=2
	global_load_ubyte v2, v3, s[16:17]
	s_add_i32 s19, s19, -1
	s_waitcnt vmcnt(0)
	v_and_b32_e32 v2, 0xffff, v2
	v_lshlrev_b64 v[22:23], s4, v[2:3]
	s_add_u32 s4, s4, 8
	s_addc_u32 s5, s5, 0
	s_add_u32 s16, s16, 1
	s_addc_u32 s17, s17, 0
	s_cmp_lg_u32 s19, 0
	v_or_b32_e32 v20, v22, v20
	v_or_b32_e32 v21, v23, v21
	s_cbranch_scc1 .LBB6_1536
.LBB6_1537:                             ;   in Loop: Header=BB6_1485 Depth=1
	s_mov_b32 s4, 0
	s_branch .LBB6_1539
.LBB6_1538:                             ;   in Loop: Header=BB6_1485 Depth=1
	s_mov_b32 s4, -1
.LBB6_1539:                             ;   in Loop: Header=BB6_1485 Depth=1
	s_andn2_b32 vcc_lo, exec_lo, s4
	s_cbranch_vccnz .LBB6_1541
; %bb.1540:                             ;   in Loop: Header=BB6_1485 Depth=1
	global_load_dwordx2 v[20:21], v3, s[14:15]
.LBB6_1541:                             ;   in Loop: Header=BB6_1485 Depth=1
	v_readfirstlane_b32 s4, v29
	v_mov_b32_e32 v26, 0
	v_mov_b32_e32 v27, 0
	v_cmp_eq_u32_e64 s4, s4, v29
	s_and_saveexec_b32 s5, s4
	s_cbranch_execz .LBB6_1547
; %bb.1542:                             ;   in Loop: Header=BB6_1485 Depth=1
	global_load_dwordx2 v[24:25], v3, s[6:7] offset:24 glc dlc
	s_waitcnt vmcnt(0)
	buffer_gl1_inv
	buffer_gl0_inv
	s_clause 0x1
	global_load_dwordx2 v[22:23], v3, s[6:7] offset:40
	global_load_dwordx2 v[26:27], v3, s[6:7]
	s_mov_b32 s14, exec_lo
	s_waitcnt vmcnt(1)
	v_and_b32_e32 v2, v23, v25
	v_and_b32_e32 v22, v22, v24
	v_mul_lo_u32 v2, v2, 24
	v_mul_hi_u32 v23, v22, 24
	v_mul_lo_u32 v22, v22, 24
	v_add_nc_u32_e32 v2, v23, v2
	s_waitcnt vmcnt(0)
	v_add_co_u32 v22, vcc_lo, v26, v22
	v_add_co_ci_u32_e64 v23, null, v27, v2, vcc_lo
	global_load_dwordx2 v[22:23], v[22:23], off glc dlc
	s_waitcnt vmcnt(0)
	global_atomic_cmpswap_x2 v[26:27], v3, v[22:25], s[6:7] offset:24 glc
	s_waitcnt vmcnt(0)
	buffer_gl1_inv
	buffer_gl0_inv
	v_cmpx_ne_u64_e64 v[26:27], v[24:25]
	s_cbranch_execz .LBB6_1546
; %bb.1543:                             ;   in Loop: Header=BB6_1485 Depth=1
	s_mov_b32 s15, 0
.LBB6_1544:                             ;   Parent Loop BB6_1485 Depth=1
                                        ; =>  This Inner Loop Header: Depth=2
	s_sleep 1
	s_clause 0x1
	global_load_dwordx2 v[22:23], v3, s[6:7] offset:40
	global_load_dwordx2 v[30:31], v3, s[6:7]
	v_mov_b32_e32 v24, v26
	v_mov_b32_e32 v25, v27
	s_waitcnt vmcnt(1)
	v_and_b32_e32 v2, v22, v24
	v_and_b32_e32 v22, v23, v25
	s_waitcnt vmcnt(0)
	v_mad_u64_u32 v[26:27], null, v2, 24, v[30:31]
	v_mov_b32_e32 v2, v27
	v_mad_u64_u32 v[22:23], null, v22, 24, v[2:3]
	v_mov_b32_e32 v27, v22
	global_load_dwordx2 v[22:23], v[26:27], off glc dlc
	s_waitcnt vmcnt(0)
	global_atomic_cmpswap_x2 v[26:27], v3, v[22:25], s[6:7] offset:24 glc
	s_waitcnt vmcnt(0)
	buffer_gl1_inv
	buffer_gl0_inv
	v_cmp_eq_u64_e32 vcc_lo, v[26:27], v[24:25]
	s_or_b32 s15, vcc_lo, s15
	s_andn2_b32 exec_lo, exec_lo, s15
	s_cbranch_execnz .LBB6_1544
; %bb.1545:                             ;   in Loop: Header=BB6_1485 Depth=1
	s_or_b32 exec_lo, exec_lo, s15
.LBB6_1546:                             ;   in Loop: Header=BB6_1485 Depth=1
	s_or_b32 exec_lo, exec_lo, s14
.LBB6_1547:                             ;   in Loop: Header=BB6_1485 Depth=1
	s_or_b32 exec_lo, exec_lo, s5
	s_clause 0x1
	global_load_dwordx2 v[30:31], v3, s[6:7] offset:40
	global_load_dwordx4 v[22:25], v3, s[6:7]
	v_readfirstlane_b32 s15, v27
	v_readfirstlane_b32 s14, v26
	s_mov_b32 s5, exec_lo
	s_waitcnt vmcnt(1)
	v_readfirstlane_b32 s16, v30
	v_readfirstlane_b32 s17, v31
	s_and_b64 s[16:17], s[16:17], s[14:15]
	s_mul_i32 s18, s17, 24
	s_mul_hi_u32 s19, s16, 24
	s_mul_i32 s20, s16, 24
	s_add_i32 s19, s19, s18
	s_waitcnt vmcnt(0)
	v_add_co_u32 v26, vcc_lo, v22, s20
	v_add_co_ci_u32_e64 v27, null, s19, v23, vcc_lo
	s_and_saveexec_b32 s18, s4
	s_cbranch_execz .LBB6_1549
; %bb.1548:                             ;   in Loop: Header=BB6_1485 Depth=1
	v_mov_b32_e32 v2, s5
	global_store_dwordx4 v[26:27], v[2:5], off offset:8
.LBB6_1549:                             ;   in Loop: Header=BB6_1485 Depth=1
	s_or_b32 exec_lo, exec_lo, s18
	v_cmp_gt_u64_e64 s5, s[10:11], 56
	s_lshl_b64 s[16:17], s[16:17], 12
	v_and_b32_e32 v2, 0xffffff1f, v6
	v_add_co_u32 v24, vcc_lo, v24, s16
	v_add_co_ci_u32_e64 v25, null, s17, v25, vcc_lo
	s_and_b32 s5, s5, exec_lo
	s_cselect_b32 s5, 0, 2
	s_lshl_b32 s18, s12, 2
	v_or_b32_e32 v2, s5, v2
	v_readfirstlane_b32 s16, v24
	v_readfirstlane_b32 s17, v25
	s_add_i32 s18, s18, 28
	v_and_or_b32 v6, 0x1e0, s18, v2
	global_store_dwordx4 v28, v[10:13], s[16:17] offset:16
	global_store_dwordx4 v28, v[14:17], s[16:17] offset:32
	global_store_dwordx4 v28, v[6:9], s[16:17]
	global_store_dwordx4 v28, v[18:21], s[16:17] offset:48
	s_and_saveexec_b32 s5, s4
	s_cbranch_execz .LBB6_1557
; %bb.1550:                             ;   in Loop: Header=BB6_1485 Depth=1
	s_clause 0x1
	global_load_dwordx2 v[14:15], v3, s[6:7] offset:32 glc dlc
	global_load_dwordx2 v[6:7], v3, s[6:7] offset:40
	v_mov_b32_e32 v12, s14
	v_mov_b32_e32 v13, s15
	s_waitcnt vmcnt(0)
	v_readfirstlane_b32 s16, v6
	v_readfirstlane_b32 s17, v7
	s_and_b64 s[16:17], s[16:17], s[14:15]
	s_mul_i32 s17, s17, 24
	s_mul_hi_u32 s18, s16, 24
	s_mul_i32 s16, s16, 24
	s_add_i32 s18, s18, s17
	v_add_co_u32 v10, vcc_lo, v22, s16
	v_add_co_ci_u32_e64 v11, null, s18, v23, vcc_lo
	s_mov_b32 s16, exec_lo
	global_store_dwordx2 v[10:11], v[14:15], off
	s_waitcnt_vscnt null, 0x0
	global_atomic_cmpswap_x2 v[8:9], v3, v[12:15], s[6:7] offset:32 glc
	s_waitcnt vmcnt(0)
	v_cmpx_ne_u64_e64 v[8:9], v[14:15]
	s_cbranch_execz .LBB6_1553
; %bb.1551:                             ;   in Loop: Header=BB6_1485 Depth=1
	s_mov_b32 s17, 0
.LBB6_1552:                             ;   Parent Loop BB6_1485 Depth=1
                                        ; =>  This Inner Loop Header: Depth=2
	v_mov_b32_e32 v6, s14
	v_mov_b32_e32 v7, s15
	s_sleep 1
	global_store_dwordx2 v[10:11], v[8:9], off
	s_waitcnt_vscnt null, 0x0
	global_atomic_cmpswap_x2 v[6:7], v3, v[6:9], s[6:7] offset:32 glc
	s_waitcnt vmcnt(0)
	v_cmp_eq_u64_e32 vcc_lo, v[6:7], v[8:9]
	v_mov_b32_e32 v9, v7
	v_mov_b32_e32 v8, v6
	s_or_b32 s17, vcc_lo, s17
	s_andn2_b32 exec_lo, exec_lo, s17
	s_cbranch_execnz .LBB6_1552
.LBB6_1553:                             ;   in Loop: Header=BB6_1485 Depth=1
	s_or_b32 exec_lo, exec_lo, s16
	global_load_dwordx2 v[6:7], v3, s[6:7] offset:16
	s_mov_b32 s17, exec_lo
	s_mov_b32 s16, exec_lo
	v_mbcnt_lo_u32_b32 v2, s17, 0
	v_cmpx_eq_u32_e32 0, v2
	s_cbranch_execz .LBB6_1555
; %bb.1554:                             ;   in Loop: Header=BB6_1485 Depth=1
	s_bcnt1_i32_b32 s17, s17
	v_mov_b32_e32 v2, s17
	s_waitcnt vmcnt(0)
	global_atomic_add_x2 v[6:7], v[2:3], off offset:8
.LBB6_1555:                             ;   in Loop: Header=BB6_1485 Depth=1
	s_or_b32 exec_lo, exec_lo, s16
	s_waitcnt vmcnt(0)
	global_load_dwordx2 v[8:9], v[6:7], off offset:16
	s_waitcnt vmcnt(0)
	v_cmp_eq_u64_e32 vcc_lo, 0, v[8:9]
	s_cbranch_vccnz .LBB6_1557
; %bb.1556:                             ;   in Loop: Header=BB6_1485 Depth=1
	global_load_dword v2, v[6:7], off offset:24
	s_waitcnt vmcnt(0)
	v_readfirstlane_b32 s16, v2
	s_waitcnt_vscnt null, 0x0
	global_store_dwordx2 v[8:9], v[2:3], off
	s_and_b32 m0, s16, 0x7fffff
	s_sendmsg sendmsg(MSG_INTERRUPT)
.LBB6_1557:                             ;   in Loop: Header=BB6_1485 Depth=1
	s_or_b32 exec_lo, exec_lo, s5
	v_add_co_u32 v6, vcc_lo, v24, v28
	v_add_co_ci_u32_e64 v7, null, 0, v25, vcc_lo
	s_branch .LBB6_1561
.LBB6_1558:                             ;   in Loop: Header=BB6_1561 Depth=2
	s_or_b32 exec_lo, exec_lo, s5
	v_readfirstlane_b32 s5, v2
	s_cmp_eq_u32 s5, 0
	s_cbranch_scc1 .LBB6_1560
; %bb.1559:                             ;   in Loop: Header=BB6_1561 Depth=2
	s_sleep 1
	s_cbranch_execnz .LBB6_1561
	s_branch .LBB6_1563
.LBB6_1560:                             ;   in Loop: Header=BB6_1485 Depth=1
	s_branch .LBB6_1563
.LBB6_1561:                             ;   Parent Loop BB6_1485 Depth=1
                                        ; =>  This Inner Loop Header: Depth=2
	v_mov_b32_e32 v2, 1
	s_and_saveexec_b32 s5, s4
	s_cbranch_execz .LBB6_1558
; %bb.1562:                             ;   in Loop: Header=BB6_1561 Depth=2
	global_load_dword v2, v[26:27], off offset:20 glc dlc
	s_waitcnt vmcnt(0)
	buffer_gl1_inv
	buffer_gl0_inv
	v_and_b32_e32 v2, 1, v2
	s_branch .LBB6_1558
.LBB6_1563:                             ;   in Loop: Header=BB6_1485 Depth=1
	global_load_dwordx4 v[6:9], v[6:7], off
	s_and_saveexec_b32 s16, s4
	s_cbranch_execz .LBB6_1484
; %bb.1564:                             ;   in Loop: Header=BB6_1485 Depth=1
	s_clause 0x2
	global_load_dwordx2 v[8:9], v3, s[6:7] offset:40
	global_load_dwordx2 v[16:17], v3, s[6:7] offset:24 glc dlc
	global_load_dwordx2 v[10:11], v3, s[6:7]
	s_waitcnt vmcnt(2)
	v_readfirstlane_b32 s18, v8
	v_readfirstlane_b32 s19, v9
	s_add_u32 s17, s18, 1
	s_addc_u32 s20, s19, 0
	s_add_u32 s4, s17, s14
	s_addc_u32 s5, s20, s15
	s_cmp_eq_u64 s[4:5], 0
	s_cselect_b32 s5, s20, s5
	s_cselect_b32 s4, s17, s4
	v_mov_b32_e32 v15, s5
	s_and_b64 s[14:15], s[4:5], s[18:19]
	v_mov_b32_e32 v14, s4
	s_mul_i32 s15, s15, 24
	s_mul_hi_u32 s17, s14, 24
	s_mul_i32 s14, s14, 24
	s_add_i32 s17, s17, s15
	s_waitcnt vmcnt(0)
	v_add_co_u32 v12, vcc_lo, v10, s14
	v_add_co_ci_u32_e64 v13, null, s17, v11, vcc_lo
	global_store_dwordx2 v[12:13], v[16:17], off
	s_waitcnt_vscnt null, 0x0
	global_atomic_cmpswap_x2 v[10:11], v3, v[14:17], s[6:7] offset:24 glc
	s_waitcnt vmcnt(0)
	v_cmp_ne_u64_e32 vcc_lo, v[10:11], v[16:17]
	s_and_b32 exec_lo, exec_lo, vcc_lo
	s_cbranch_execz .LBB6_1484
; %bb.1565:                             ;   in Loop: Header=BB6_1485 Depth=1
	s_mov_b32 s14, 0
.LBB6_1566:                             ;   Parent Loop BB6_1485 Depth=1
                                        ; =>  This Inner Loop Header: Depth=2
	v_mov_b32_e32 v8, s4
	v_mov_b32_e32 v9, s5
	s_sleep 1
	global_store_dwordx2 v[12:13], v[10:11], off
	s_waitcnt_vscnt null, 0x0
	global_atomic_cmpswap_x2 v[8:9], v3, v[8:11], s[6:7] offset:24 glc
	s_waitcnt vmcnt(0)
	v_cmp_eq_u64_e32 vcc_lo, v[8:9], v[10:11]
	v_mov_b32_e32 v11, v9
	v_mov_b32_e32 v10, v8
	s_or_b32 s14, vcc_lo, s14
	s_andn2_b32 exec_lo, exec_lo, s14
	s_cbranch_execnz .LBB6_1566
	s_branch .LBB6_1484
.LBB6_1567:
	s_mov_b32 s4, 0
	s_branch .LBB6_1569
.LBB6_1568:
	s_mov_b32 s4, -1
.LBB6_1569:
	s_and_b32 vcc_lo, exec_lo, s4
	s_cbranch_vccz .LBB6_1597
; %bb.1570:
	v_readfirstlane_b32 s4, v29
	s_waitcnt vmcnt(0)
	v_mov_b32_e32 v8, 0
	v_mov_b32_e32 v9, 0
	v_cmp_eq_u32_e64 s4, s4, v29
	s_and_saveexec_b32 s5, s4
	s_cbranch_execz .LBB6_1576
; %bb.1571:
	v_mov_b32_e32 v2, 0
	s_mov_b32 s8, exec_lo
	global_load_dwordx2 v[5:6], v2, s[6:7] offset:24 glc dlc
	s_waitcnt vmcnt(0)
	buffer_gl1_inv
	buffer_gl0_inv
	s_clause 0x1
	global_load_dwordx2 v[3:4], v2, s[6:7] offset:40
	global_load_dwordx2 v[7:8], v2, s[6:7]
	s_waitcnt vmcnt(1)
	v_and_b32_e32 v4, v4, v6
	v_and_b32_e32 v3, v3, v5
	v_mul_lo_u32 v4, v4, 24
	v_mul_hi_u32 v9, v3, 24
	v_mul_lo_u32 v3, v3, 24
	v_add_nc_u32_e32 v4, v9, v4
	s_waitcnt vmcnt(0)
	v_add_co_u32 v3, vcc_lo, v7, v3
	v_add_co_ci_u32_e64 v4, null, v8, v4, vcc_lo
	global_load_dwordx2 v[3:4], v[3:4], off glc dlc
	s_waitcnt vmcnt(0)
	global_atomic_cmpswap_x2 v[8:9], v2, v[3:6], s[6:7] offset:24 glc
	s_waitcnt vmcnt(0)
	buffer_gl1_inv
	buffer_gl0_inv
	v_cmpx_ne_u64_e64 v[8:9], v[5:6]
	s_cbranch_execz .LBB6_1575
; %bb.1572:
	s_mov_b32 s9, 0
.LBB6_1573:                             ; =>This Inner Loop Header: Depth=1
	s_sleep 1
	s_clause 0x1
	global_load_dwordx2 v[3:4], v2, s[6:7] offset:40
	global_load_dwordx2 v[10:11], v2, s[6:7]
	v_mov_b32_e32 v5, v8
	v_mov_b32_e32 v6, v9
	s_waitcnt vmcnt(1)
	v_and_b32_e32 v3, v3, v5
	v_and_b32_e32 v4, v4, v6
	s_waitcnt vmcnt(0)
	v_mad_u64_u32 v[7:8], null, v3, 24, v[10:11]
	v_mov_b32_e32 v3, v8
	v_mad_u64_u32 v[3:4], null, v4, 24, v[3:4]
	v_mov_b32_e32 v8, v3
	global_load_dwordx2 v[3:4], v[7:8], off glc dlc
	s_waitcnt vmcnt(0)
	global_atomic_cmpswap_x2 v[8:9], v2, v[3:6], s[6:7] offset:24 glc
	s_waitcnt vmcnt(0)
	buffer_gl1_inv
	buffer_gl0_inv
	v_cmp_eq_u64_e32 vcc_lo, v[8:9], v[5:6]
	s_or_b32 s9, vcc_lo, s9
	s_andn2_b32 exec_lo, exec_lo, s9
	s_cbranch_execnz .LBB6_1573
; %bb.1574:
	s_or_b32 exec_lo, exec_lo, s9
.LBB6_1575:
	s_or_b32 exec_lo, exec_lo, s8
.LBB6_1576:
	s_or_b32 exec_lo, exec_lo, s5
	v_mov_b32_e32 v2, 0
	v_readfirstlane_b32 s9, v9
	v_readfirstlane_b32 s8, v8
	s_mov_b32 s5, exec_lo
	s_clause 0x1
	global_load_dwordx2 v[10:11], v2, s[6:7] offset:40
	global_load_dwordx4 v[4:7], v2, s[6:7]
	s_waitcnt vmcnt(1)
	v_readfirstlane_b32 s10, v10
	v_readfirstlane_b32 s11, v11
	s_and_b64 s[10:11], s[10:11], s[8:9]
	s_mul_i32 s12, s11, 24
	s_mul_hi_u32 s13, s10, 24
	s_mul_i32 s14, s10, 24
	s_add_i32 s13, s13, s12
	s_waitcnt vmcnt(0)
	v_add_co_u32 v8, vcc_lo, v4, s14
	v_add_co_ci_u32_e64 v9, null, s13, v5, vcc_lo
	s_and_saveexec_b32 s12, s4
	s_cbranch_execz .LBB6_1578
; %bb.1577:
	v_mov_b32_e32 v10, s5
	v_mov_b32_e32 v11, v2
	;; [unrolled: 1-line block ×4, first 2 shown]
	global_store_dwordx4 v[8:9], v[10:13], off offset:8
.LBB6_1578:
	s_or_b32 exec_lo, exec_lo, s12
	s_lshl_b64 s[10:11], s[10:11], 12
	s_mov_b32 s12, 0
	v_add_co_u32 v6, vcc_lo, v6, s10
	v_add_co_ci_u32_e64 v7, null, s11, v7, vcc_lo
	s_mov_b32 s13, s12
	s_mov_b32 s14, s12
	;; [unrolled: 1-line block ×3, first 2 shown]
	v_and_or_b32 v0, 0xffffff1d, v0, 34
	v_mov_b32_e32 v3, v2
	v_readfirstlane_b32 s10, v6
	v_readfirstlane_b32 s11, v7
	v_mov_b32_e32 v10, s12
	v_mov_b32_e32 v11, s13
	;; [unrolled: 1-line block ×4, first 2 shown]
	global_store_dwordx4 v28, v[0:3], s[10:11]
	global_store_dwordx4 v28, v[10:13], s[10:11] offset:16
	global_store_dwordx4 v28, v[10:13], s[10:11] offset:32
	;; [unrolled: 1-line block ×3, first 2 shown]
	s_and_saveexec_b32 s5, s4
	s_cbranch_execz .LBB6_1586
; %bb.1579:
	v_mov_b32_e32 v6, 0
	v_mov_b32_e32 v10, s8
	;; [unrolled: 1-line block ×3, first 2 shown]
	s_clause 0x1
	global_load_dwordx2 v[12:13], v6, s[6:7] offset:32 glc dlc
	global_load_dwordx2 v[0:1], v6, s[6:7] offset:40
	s_waitcnt vmcnt(0)
	v_readfirstlane_b32 s10, v0
	v_readfirstlane_b32 s11, v1
	s_and_b64 s[10:11], s[10:11], s[8:9]
	s_mul_i32 s11, s11, 24
	s_mul_hi_u32 s12, s10, 24
	s_mul_i32 s10, s10, 24
	s_add_i32 s12, s12, s11
	v_add_co_u32 v4, vcc_lo, v4, s10
	v_add_co_ci_u32_e64 v5, null, s12, v5, vcc_lo
	s_mov_b32 s10, exec_lo
	global_store_dwordx2 v[4:5], v[12:13], off
	s_waitcnt_vscnt null, 0x0
	global_atomic_cmpswap_x2 v[2:3], v6, v[10:13], s[6:7] offset:32 glc
	s_waitcnt vmcnt(0)
	v_cmpx_ne_u64_e64 v[2:3], v[12:13]
	s_cbranch_execz .LBB6_1582
; %bb.1580:
	s_mov_b32 s11, 0
.LBB6_1581:                             ; =>This Inner Loop Header: Depth=1
	v_mov_b32_e32 v0, s8
	v_mov_b32_e32 v1, s9
	s_sleep 1
	global_store_dwordx2 v[4:5], v[2:3], off
	s_waitcnt_vscnt null, 0x0
	global_atomic_cmpswap_x2 v[0:1], v6, v[0:3], s[6:7] offset:32 glc
	s_waitcnt vmcnt(0)
	v_cmp_eq_u64_e32 vcc_lo, v[0:1], v[2:3]
	v_mov_b32_e32 v3, v1
	v_mov_b32_e32 v2, v0
	s_or_b32 s11, vcc_lo, s11
	s_andn2_b32 exec_lo, exec_lo, s11
	s_cbranch_execnz .LBB6_1581
.LBB6_1582:
	s_or_b32 exec_lo, exec_lo, s10
	v_mov_b32_e32 v3, 0
	s_mov_b32 s11, exec_lo
	s_mov_b32 s10, exec_lo
	v_mbcnt_lo_u32_b32 v2, s11, 0
	global_load_dwordx2 v[0:1], v3, s[6:7] offset:16
	v_cmpx_eq_u32_e32 0, v2
	s_cbranch_execz .LBB6_1584
; %bb.1583:
	s_bcnt1_i32_b32 s11, s11
	v_mov_b32_e32 v2, s11
	s_waitcnt vmcnt(0)
	global_atomic_add_x2 v[0:1], v[2:3], off offset:8
.LBB6_1584:
	s_or_b32 exec_lo, exec_lo, s10
	s_waitcnt vmcnt(0)
	global_load_dwordx2 v[2:3], v[0:1], off offset:16
	s_waitcnt vmcnt(0)
	v_cmp_eq_u64_e32 vcc_lo, 0, v[2:3]
	s_cbranch_vccnz .LBB6_1586
; %bb.1585:
	global_load_dword v0, v[0:1], off offset:24
	v_mov_b32_e32 v1, 0
	s_waitcnt vmcnt(0)
	v_readfirstlane_b32 s10, v0
	s_waitcnt_vscnt null, 0x0
	global_store_dwordx2 v[2:3], v[0:1], off
	s_and_b32 m0, s10, 0x7fffff
	s_sendmsg sendmsg(MSG_INTERRUPT)
.LBB6_1586:
	s_or_b32 exec_lo, exec_lo, s5
	s_branch .LBB6_1590
.LBB6_1587:                             ;   in Loop: Header=BB6_1590 Depth=1
	s_or_b32 exec_lo, exec_lo, s5
	v_readfirstlane_b32 s5, v0
	s_cmp_eq_u32 s5, 0
	s_cbranch_scc1 .LBB6_1589
; %bb.1588:                             ;   in Loop: Header=BB6_1590 Depth=1
	s_sleep 1
	s_cbranch_execnz .LBB6_1590
	s_branch .LBB6_1592
.LBB6_1589:
	s_branch .LBB6_1592
.LBB6_1590:                             ; =>This Inner Loop Header: Depth=1
	v_mov_b32_e32 v0, 1
	s_and_saveexec_b32 s5, s4
	s_cbranch_execz .LBB6_1587
; %bb.1591:                             ;   in Loop: Header=BB6_1590 Depth=1
	global_load_dword v0, v[8:9], off offset:20 glc dlc
	s_waitcnt vmcnt(0)
	buffer_gl1_inv
	buffer_gl0_inv
	v_and_b32_e32 v0, 1, v0
	s_branch .LBB6_1587
.LBB6_1592:
	s_and_saveexec_b32 s10, s4
	s_cbranch_execz .LBB6_1596
; %bb.1593:
	v_mov_b32_e32 v6, 0
	s_clause 0x2
	global_load_dwordx2 v[0:1], v6, s[6:7] offset:40
	global_load_dwordx2 v[9:10], v6, s[6:7] offset:24 glc dlc
	global_load_dwordx2 v[2:3], v6, s[6:7]
	s_waitcnt vmcnt(2)
	v_readfirstlane_b32 s12, v0
	v_readfirstlane_b32 s13, v1
	s_add_u32 s11, s12, 1
	s_addc_u32 s14, s13, 0
	s_add_u32 s4, s11, s8
	s_addc_u32 s5, s14, s9
	s_cmp_eq_u64 s[4:5], 0
	s_cselect_b32 s5, s14, s5
	s_cselect_b32 s4, s11, s4
	v_mov_b32_e32 v8, s5
	s_and_b64 s[8:9], s[4:5], s[12:13]
	v_mov_b32_e32 v7, s4
	s_mul_i32 s9, s9, 24
	s_mul_hi_u32 s11, s8, 24
	s_mul_i32 s8, s8, 24
	s_add_i32 s11, s11, s9
	s_waitcnt vmcnt(0)
	v_add_co_u32 v4, vcc_lo, v2, s8
	v_add_co_ci_u32_e64 v5, null, s11, v3, vcc_lo
	global_store_dwordx2 v[4:5], v[9:10], off
	s_waitcnt_vscnt null, 0x0
	global_atomic_cmpswap_x2 v[2:3], v6, v[7:10], s[6:7] offset:24 glc
	s_waitcnt vmcnt(0)
	v_cmp_ne_u64_e32 vcc_lo, v[2:3], v[9:10]
	s_and_b32 exec_lo, exec_lo, vcc_lo
	s_cbranch_execz .LBB6_1596
; %bb.1594:
	s_mov_b32 s8, 0
.LBB6_1595:                             ; =>This Inner Loop Header: Depth=1
	v_mov_b32_e32 v0, s4
	v_mov_b32_e32 v1, s5
	s_sleep 1
	global_store_dwordx2 v[4:5], v[2:3], off
	s_waitcnt_vscnt null, 0x0
	global_atomic_cmpswap_x2 v[0:1], v6, v[0:3], s[6:7] offset:24 glc
	s_waitcnt vmcnt(0)
	v_cmp_eq_u64_e32 vcc_lo, v[0:1], v[2:3]
	v_mov_b32_e32 v3, v1
	v_mov_b32_e32 v2, v0
	s_or_b32 s8, vcc_lo, s8
	s_andn2_b32 exec_lo, exec_lo, s8
	s_cbranch_execnz .LBB6_1595
.LBB6_1596:
	s_or_b32 exec_lo, exec_lo, s10
.LBB6_1597:
	s_getpc_b64 s[4:5]
	s_add_u32 s4, s4, .str.29@rel32@lo+4
	s_addc_u32 s5, s5, .str.29@rel32@hi+12
	s_getpc_b64 s[6:7]
	s_add_u32 s6, s6, .str.19@rel32@lo+4
	s_addc_u32 s7, s7, .str.19@rel32@hi+12
	s_getpc_b64 s[8:9]
	s_add_u32 s8, s8, __PRETTY_FUNCTION__._ZN7VecsMemIjLi8192EE5fetchEi@rel32@lo+4
	s_addc_u32 s9, s9, __PRETTY_FUNCTION__._ZN7VecsMemIjLi8192EE5fetchEi@rel32@hi+12
	s_waitcnt vmcnt(0)
	v_mov_b32_e32 v0, s4
	v_mov_b32_e32 v1, s5
	;; [unrolled: 1-line block ×7, first 2 shown]
	s_getpc_b64 s[10:11]
	s_add_u32 s10, s10, __assert_fail@rel32@lo+4
	s_addc_u32 s11, s11, __assert_fail@rel32@hi+12
	s_mov_b64 s[8:9], s[52:53]
	s_swappc_b64 s[30:31], s[10:11]
	s_or_b32 s22, s22, exec_lo
.LBB6_1598:
	s_or_b32 exec_lo, exec_lo, s23
	v_readlane_b32 s5, v59, 0
	s_and_b32 s6, s22, exec_lo
	s_and_b32 s36, s21, exec_lo
	v_readlane_b32 s42, v59, 20
	v_readlane_b32 s24, v59, 10
	s_andn2_b32 s4, s5, exec_lo
	v_readlane_b32 s25, v59, 9
	s_or_b32 s34, s4, s6
	v_readlane_b32 s26, v59, 8
	v_readlane_b32 s22, v59, 7
	;; [unrolled: 1-line block ×16, first 2 shown]
	s_mov_b32 s43, 0
                                        ; implicit-def: $vgpr44
                                        ; implicit-def: $vgpr42
                                        ; implicit-def: $vgpr47
                                        ; implicit-def: $vgpr70
.LBB6_1599:
	s_andn2_saveexec_b32 s4, s4
	s_cbranch_execz .LBB6_1812
; %bb.1600:
	v_lshrrev_b32_e64 v0, 5, s33
	s_mov_b64 s[38:39], src_private_base
	v_writelane_b32 v59, s4, 10
	v_mov_b32_e32 v1, s39
	v_mov_b32_e32 v2, v47
	v_add_nc_u32_e32 v0, 0x68, v0
	v_mov_b32_e32 v3, v44
	v_mov_b32_e32 v4, v45
	;; [unrolled: 1-line block ×4, first 2 shown]
	s_getpc_b64 s[50:51]
	s_add_u32 s50, s50, _ZN3sop12sopFactorRecEPNS_3SopEiP7VecsMemIjLi8192EEPN8subgUtil4SubgILi256EEE@rel32@lo+4
	s_addc_u32 s51, s51, _ZN3sop12sopFactorRecEPNS_3SopEiP7VecsMemIjLi8192EEPN8subgUtil4SubgILi256EEE@rel32@hi+12
	s_mov_b64 s[8:9], s[52:53]
	v_writelane_b32 v59, s47, 18
	v_mov_b32_e32 v57, v70
	s_mov_b32 s70, s41
	s_mov_b32 s69, s40
	;; [unrolled: 1-line block ×5, first 2 shown]
	s_swappc_b64 s[30:31], s[50:51]
	v_mov_b32_e32 v40, v0
	v_lshrrev_b32_e64 v0, 5, s33
	v_mov_b32_e32 v1, s39
	v_mov_b32_e32 v2, v47
	v_mov_b32_e32 v3, v44
	v_mov_b32_e32 v4, v45
	v_add_nc_u32_e32 v0, 0x78, v0
	v_mov_b32_e32 v5, v42
	v_mov_b32_e32 v6, v43
	s_mov_b64 s[8:9], s[52:53]
	s_swappc_b64 s[30:31], s[50:51]
	flat_load_dword v1, v[42:43]
	s_mov_b32 s4, s34
	s_mov_b32 s5, exec_lo
	s_waitcnt vmcnt(0) lgkmcnt(0)
	v_cmpx_lt_i32_e32 0xff, v1
	s_xor_b32 s21, exec_lo, s5
	s_cbranch_execz .LBB6_1602
; %bb.1601:
	s_getpc_b64 s[4:5]
	s_add_u32 s4, s4, .str.43@rel32@lo+4
	s_addc_u32 s5, s5, .str.43@rel32@hi+12
	s_getpc_b64 s[6:7]
	s_add_u32 s6, s6, .str.44@rel32@lo+4
	s_addc_u32 s7, s7, .str.44@rel32@hi+12
	s_getpc_b64 s[8:9]
	s_add_u32 s8, s8, __PRETTY_FUNCTION__._ZN8subgUtil4SubgILi256EE10addNodeAndEii@rel32@lo+4
	s_addc_u32 s9, s9, __PRETTY_FUNCTION__._ZN8subgUtil4SubgILi256EE10addNodeAndEii@rel32@hi+12
	v_mov_b32_e32 v0, s4
	v_mov_b32_e32 v1, s5
	;; [unrolled: 1-line block ×7, first 2 shown]
	s_getpc_b64 s[10:11]
	s_add_u32 s10, s10, __assert_fail@rel32@lo+4
	s_addc_u32 s11, s11, __assert_fail@rel32@hi+12
	s_mov_b64 s[8:9], s[52:53]
	s_swappc_b64 s[30:31], s[10:11]
	s_or_b32 s4, s34, exec_lo
                                        ; implicit-def: $vgpr1
                                        ; implicit-def: $vgpr40
                                        ; implicit-def: $vgpr0
                                        ; implicit-def: $vgpr44
                                        ; implicit-def: $vgpr42
                                        ; implicit-def: $vgpr47
                                        ; implicit-def: $vgpr57
.LBB6_1602:
	s_or_saveexec_b32 s35, s21
	s_mov_b32 s5, s36
                                        ; implicit-def: $vgpr41
	s_xor_b32 exec_lo, exec_lo, s35
	s_cbranch_execz .LBB6_1811
; %bb.1603:
	v_writelane_b32 v59, s34, 5
	v_or_b32_e32 v2, v0, v40
	s_mov_b32 s5, -1
	s_mov_b32 s21, s36
	s_mov_b32 s34, s4
	;; [unrolled: 1-line block ×3, first 2 shown]
	v_writelane_b32 v59, s36, 7
                                        ; implicit-def: $vgpr41
	s_mov_b32 s4, exec_lo
	v_cmpx_lt_i32_e32 -1, v2
	s_xor_b32 s36, exec_lo, s4
	s_cbranch_execz .LBB6_1808
; %bb.1604:
	v_ashrrev_i32_e32 v2, 31, v1
	v_max_i32_e32 v4, v40, v0
	v_min_i32_e32 v5, v40, v0
	v_add_nc_u32_e32 v0, 1, v1
	v_lshlrev_b32_e32 v41, 1, v1
	v_lshlrev_b64 v[2:3], 3, v[1:2]
	v_lshlrev_b32_e32 v4, 1, v4
	s_mov_b32 s4, s34
	s_mov_b32 s37, exec_lo
	flat_store_dword v[42:43], v0
	v_add_co_u32 v2, vcc_lo, v42, v2
	v_add_co_ci_u32_e64 v3, null, v43, v3, vcc_lo
	flat_store_dwordx2 v[2:3], v[4:5] offset:8
	v_cmpx_ne_u32_e64 v56, v57
	s_cbranch_execz .LBB6_1807
; %bb.1605:
	v_lshrrev_b32_e64 v0, 5, s33
	s_mov_b64 s[4:5], src_private_base
	v_mov_b32_e32 v2, v47
	v_mov_b32_e32 v1, s5
	;; [unrolled: 1-line block ×3, first 2 shown]
	v_add_nc_u32_e32 v0, 0x88, v0
	v_mov_b32_e32 v4, v45
	v_mov_b32_e32 v5, v42
	;; [unrolled: 1-line block ×3, first 2 shown]
	s_getpc_b64 s[6:7]
	s_add_u32 s6, s6, _ZN3sop12sopFactorRecEPNS_3SopEiP7VecsMemIjLi8192EEPN8subgUtil4SubgILi256EEE@rel32@lo+4
	s_addc_u32 s7, s7, _ZN3sop12sopFactorRecEPNS_3SopEiP7VecsMemIjLi8192EEPN8subgUtil4SubgILi256EEE@rel32@hi+12
	s_mov_b64 s[8:9], s[52:53]
	s_swappc_b64 s[30:31], s[6:7]
	flat_load_dword v1, v[42:43]
	s_mov_b32 s21, s34
	s_mov_b32 s4, exec_lo
	s_waitcnt vmcnt(0) lgkmcnt(0)
	v_cmpx_lt_i32_e32 0xff, v1
	s_xor_b32 s22, exec_lo, s4
	s_cbranch_execz .LBB6_1607
; %bb.1606:
	s_getpc_b64 s[4:5]
	s_add_u32 s4, s4, .str.43@rel32@lo+4
	s_addc_u32 s5, s5, .str.43@rel32@hi+12
	s_getpc_b64 s[6:7]
	s_add_u32 s6, s6, .str.44@rel32@lo+4
	s_addc_u32 s7, s7, .str.44@rel32@hi+12
	s_getpc_b64 s[8:9]
	s_add_u32 s8, s8, __PRETTY_FUNCTION__._ZN8subgUtil4SubgILi256EE9addNodeOrEii@rel32@lo+4
	s_addc_u32 s9, s9, __PRETTY_FUNCTION__._ZN8subgUtil4SubgILi256EE9addNodeOrEii@rel32@hi+12
	v_mov_b32_e32 v0, s4
	v_mov_b32_e32 v1, s5
	;; [unrolled: 1-line block ×7, first 2 shown]
	s_getpc_b64 s[10:11]
	s_add_u32 s10, s10, __assert_fail@rel32@lo+4
	s_addc_u32 s11, s11, __assert_fail@rel32@hi+12
	s_mov_b64 s[8:9], s[52:53]
	s_swappc_b64 s[30:31], s[10:11]
	s_or_b32 s21, s34, exec_lo
                                        ; implicit-def: $vgpr0
                                        ; implicit-def: $vgpr41
                                        ; implicit-def: $vgpr42_vgpr43
.LBB6_1607:
	s_or_saveexec_b32 s22, s22
	s_mov_b32 s5, 0
	s_xor_b32 exec_lo, exec_lo, s22
	s_cbranch_execz .LBB6_1806
; %bb.1608:
	v_min_i32_e32 v34, v41, v0
	v_max_i32_e32 v3, v41, v0
	v_xor_b32_e32 v30, 1, v34
	v_xor_b32_e32 v31, 1, v3
	v_cmp_gt_i32_e64 s4, v30, v31
	s_and_saveexec_b32 s20, s4
	s_cbranch_execz .LBB6_1801
; %bb.1609:
	s_load_dwordx2 s[6:7], s[52:53], 0x50
	v_mbcnt_lo_u32_b32 v33, -1, 0
	v_mov_b32_e32 v1, 0
	v_mov_b32_e32 v2, 0
	v_readfirstlane_b32 s5, v33
	v_cmp_eq_u32_e64 s5, s5, v33
	s_and_saveexec_b32 s8, s5
	s_cbranch_execz .LBB6_1615
; %bb.1610:
	v_mov_b32_e32 v4, 0
	s_mov_b32 s9, exec_lo
	s_waitcnt lgkmcnt(0)
	global_load_dwordx2 v[7:8], v4, s[6:7] offset:24 glc dlc
	s_waitcnt vmcnt(0)
	buffer_gl1_inv
	buffer_gl0_inv
	s_clause 0x1
	global_load_dwordx2 v[1:2], v4, s[6:7] offset:40
	global_load_dwordx2 v[5:6], v4, s[6:7]
	s_waitcnt vmcnt(1)
	v_and_b32_e32 v2, v2, v8
	v_and_b32_e32 v1, v1, v7
	v_mul_lo_u32 v2, v2, 24
	v_mul_hi_u32 v9, v1, 24
	v_mul_lo_u32 v1, v1, 24
	v_add_nc_u32_e32 v2, v9, v2
	s_waitcnt vmcnt(0)
	v_add_co_u32 v1, vcc_lo, v5, v1
	v_add_co_ci_u32_e64 v2, null, v6, v2, vcc_lo
	global_load_dwordx2 v[5:6], v[1:2], off glc dlc
	s_waitcnt vmcnt(0)
	global_atomic_cmpswap_x2 v[1:2], v4, v[5:8], s[6:7] offset:24 glc
	s_waitcnt vmcnt(0)
	buffer_gl1_inv
	buffer_gl0_inv
	v_cmpx_ne_u64_e64 v[1:2], v[7:8]
	s_cbranch_execz .LBB6_1614
; %bb.1611:
	s_mov_b32 s10, 0
.LBB6_1612:                             ; =>This Inner Loop Header: Depth=1
	s_sleep 1
	s_clause 0x1
	global_load_dwordx2 v[5:6], v4, s[6:7] offset:40
	global_load_dwordx2 v[9:10], v4, s[6:7]
	v_mov_b32_e32 v8, v2
	v_mov_b32_e32 v7, v1
	s_waitcnt vmcnt(1)
	v_and_b32_e32 v1, v5, v7
	v_and_b32_e32 v5, v6, v8
	s_waitcnt vmcnt(0)
	v_mad_u64_u32 v[1:2], null, v1, 24, v[9:10]
	v_mad_u64_u32 v[5:6], null, v5, 24, v[2:3]
	v_mov_b32_e32 v2, v5
	global_load_dwordx2 v[5:6], v[1:2], off glc dlc
	s_waitcnt vmcnt(0)
	global_atomic_cmpswap_x2 v[1:2], v4, v[5:8], s[6:7] offset:24 glc
	s_waitcnt vmcnt(0)
	buffer_gl1_inv
	buffer_gl0_inv
	v_cmp_eq_u64_e32 vcc_lo, v[1:2], v[7:8]
	s_or_b32 s10, vcc_lo, s10
	s_andn2_b32 exec_lo, exec_lo, s10
	s_cbranch_execnz .LBB6_1612
; %bb.1613:
	s_or_b32 exec_lo, exec_lo, s10
.LBB6_1614:
	s_or_b32 exec_lo, exec_lo, s9
.LBB6_1615:
	s_or_b32 exec_lo, exec_lo, s8
	v_mov_b32_e32 v9, 0
	v_readfirstlane_b32 s9, v2
	v_readfirstlane_b32 s8, v1
	s_mov_b32 s12, exec_lo
	s_waitcnt lgkmcnt(0)
	s_clause 0x1
	global_load_dwordx2 v[10:11], v9, s[6:7] offset:40
	global_load_dwordx4 v[4:7], v9, s[6:7]
	s_waitcnt vmcnt(1)
	v_readfirstlane_b32 s10, v10
	v_readfirstlane_b32 s11, v11
	s_and_b64 s[10:11], s[10:11], s[8:9]
	s_mul_i32 s13, s11, 24
	s_mul_hi_u32 s14, s10, 24
	s_mul_i32 s15, s10, 24
	s_add_i32 s14, s14, s13
	s_waitcnt vmcnt(0)
	v_add_co_u32 v1, vcc_lo, v4, s15
	v_add_co_ci_u32_e64 v2, null, s14, v5, vcc_lo
	s_and_saveexec_b32 s13, s5
	s_cbranch_execz .LBB6_1617
; %bb.1616:
	v_mov_b32_e32 v8, s12
	v_mov_b32_e32 v10, 2
	;; [unrolled: 1-line block ×3, first 2 shown]
	global_store_dwordx4 v[1:2], v[8:11], off offset:8
.LBB6_1617:
	s_or_b32 exec_lo, exec_lo, s13
	s_lshl_b64 s[10:11], s[10:11], 12
	v_lshlrev_b32_e32 v32, 6, v33
	v_add_co_u32 v6, vcc_lo, v6, s10
	v_add_co_ci_u32_e64 v7, null, s11, v7, vcc_lo
	s_mov_b32 s12, 0
	v_add_co_u32 v12, vcc_lo, v6, v32
	s_mov_b32 s15, s12
	s_mov_b32 s13, s12
	;; [unrolled: 1-line block ×3, first 2 shown]
	v_mov_b32_e32 v8, 33
	v_mov_b32_e32 v10, v9
	;; [unrolled: 1-line block ×3, first 2 shown]
	v_readfirstlane_b32 s10, v6
	v_readfirstlane_b32 s11, v7
	v_mov_b32_e32 v17, s15
	v_add_co_ci_u32_e64 v13, null, 0, v7, vcc_lo
	v_mov_b32_e32 v16, s14
	v_mov_b32_e32 v15, s13
	;; [unrolled: 1-line block ×3, first 2 shown]
	global_store_dwordx4 v32, v[8:11], s[10:11]
	global_store_dwordx4 v32, v[14:17], s[10:11] offset:16
	global_store_dwordx4 v32, v[14:17], s[10:11] offset:32
	;; [unrolled: 1-line block ×3, first 2 shown]
	s_and_saveexec_b32 s10, s5
	s_cbranch_execz .LBB6_1624
; %bb.1618:
	v_mov_b32_e32 v10, 0
	v_mov_b32_e32 v14, s8
	;; [unrolled: 1-line block ×3, first 2 shown]
	s_mov_b32 s11, exec_lo
	s_clause 0x1
	global_load_dwordx2 v[16:17], v10, s[6:7] offset:32 glc dlc
	global_load_dwordx2 v[6:7], v10, s[6:7] offset:40
	s_waitcnt vmcnt(0)
	v_and_b32_e32 v7, s9, v7
	v_and_b32_e32 v6, s8, v6
	v_mul_lo_u32 v7, v7, 24
	v_mul_hi_u32 v8, v6, 24
	v_mul_lo_u32 v6, v6, 24
	v_add_nc_u32_e32 v7, v8, v7
	v_add_co_u32 v8, vcc_lo, v4, v6
	v_add_co_ci_u32_e64 v9, null, v5, v7, vcc_lo
	global_store_dwordx2 v[8:9], v[16:17], off
	s_waitcnt_vscnt null, 0x0
	global_atomic_cmpswap_x2 v[6:7], v10, v[14:17], s[6:7] offset:32 glc
	s_waitcnt vmcnt(0)
	v_cmpx_ne_u64_e64 v[6:7], v[16:17]
	s_cbranch_execz .LBB6_1620
.LBB6_1619:                             ; =>This Inner Loop Header: Depth=1
	v_mov_b32_e32 v4, s8
	v_mov_b32_e32 v5, s9
	s_sleep 1
	global_store_dwordx2 v[8:9], v[6:7], off
	s_waitcnt_vscnt null, 0x0
	global_atomic_cmpswap_x2 v[4:5], v10, v[4:7], s[6:7] offset:32 glc
	s_waitcnt vmcnt(0)
	v_cmp_eq_u64_e32 vcc_lo, v[4:5], v[6:7]
	v_mov_b32_e32 v7, v5
	v_mov_b32_e32 v6, v4
	s_or_b32 s12, vcc_lo, s12
	s_andn2_b32 exec_lo, exec_lo, s12
	s_cbranch_execnz .LBB6_1619
.LBB6_1620:
	s_or_b32 exec_lo, exec_lo, s11
	v_mov_b32_e32 v7, 0
	s_mov_b32 s12, exec_lo
	s_mov_b32 s11, exec_lo
	v_mbcnt_lo_u32_b32 v6, s12, 0
	global_load_dwordx2 v[4:5], v7, s[6:7] offset:16
	v_cmpx_eq_u32_e32 0, v6
	s_cbranch_execz .LBB6_1622
; %bb.1621:
	s_bcnt1_i32_b32 s12, s12
	v_mov_b32_e32 v6, s12
	s_waitcnt vmcnt(0)
	global_atomic_add_x2 v[4:5], v[6:7], off offset:8
.LBB6_1622:
	s_or_b32 exec_lo, exec_lo, s11
	s_waitcnt vmcnt(0)
	global_load_dwordx2 v[6:7], v[4:5], off offset:16
	s_waitcnt vmcnt(0)
	v_cmp_eq_u64_e32 vcc_lo, 0, v[6:7]
	s_cbranch_vccnz .LBB6_1624
; %bb.1623:
	global_load_dword v4, v[4:5], off offset:24
	v_mov_b32_e32 v5, 0
	s_waitcnt vmcnt(0)
	v_readfirstlane_b32 s11, v4
	s_waitcnt_vscnt null, 0x0
	global_store_dwordx2 v[6:7], v[4:5], off
	s_and_b32 m0, s11, 0x7fffff
	s_sendmsg sendmsg(MSG_INTERRUPT)
.LBB6_1624:
	s_or_b32 exec_lo, exec_lo, s10
	s_branch .LBB6_1628
.LBB6_1625:                             ;   in Loop: Header=BB6_1628 Depth=1
	s_or_b32 exec_lo, exec_lo, s10
	v_readfirstlane_b32 s10, v4
	s_cmp_eq_u32 s10, 0
	s_cbranch_scc1 .LBB6_1627
; %bb.1626:                             ;   in Loop: Header=BB6_1628 Depth=1
	s_sleep 1
	s_cbranch_execnz .LBB6_1628
	s_branch .LBB6_1630
.LBB6_1627:
	s_branch .LBB6_1630
.LBB6_1628:                             ; =>This Inner Loop Header: Depth=1
	v_mov_b32_e32 v4, 1
	s_and_saveexec_b32 s10, s5
	s_cbranch_execz .LBB6_1625
; %bb.1629:                             ;   in Loop: Header=BB6_1628 Depth=1
	global_load_dword v4, v[1:2], off offset:20 glc dlc
	s_waitcnt vmcnt(0)
	buffer_gl1_inv
	buffer_gl0_inv
	v_and_b32_e32 v4, 1, v4
	s_branch .LBB6_1625
.LBB6_1630:
	global_load_dwordx2 v[4:5], v[12:13], off
	s_and_saveexec_b32 s10, s5
	s_cbranch_execz .LBB6_1634
; %bb.1631:
	v_mov_b32_e32 v10, 0
	s_clause 0x2
	global_load_dwordx2 v[1:2], v10, s[6:7] offset:40
	global_load_dwordx2 v[13:14], v10, s[6:7] offset:24 glc dlc
	global_load_dwordx2 v[6:7], v10, s[6:7]
	s_waitcnt vmcnt(2)
	v_readfirstlane_b32 s12, v1
	v_readfirstlane_b32 s13, v2
	s_add_u32 s5, s12, 1
	s_addc_u32 s11, s13, 0
	s_add_u32 s8, s5, s8
	s_addc_u32 s9, s11, s9
	s_cmp_eq_u64 s[8:9], 0
	s_cselect_b32 s9, s11, s9
	s_cselect_b32 s8, s5, s8
	v_mov_b32_e32 v12, s9
	s_and_b64 s[12:13], s[8:9], s[12:13]
	v_mov_b32_e32 v11, s8
	s_mul_i32 s5, s13, 24
	s_mul_hi_u32 s11, s12, 24
	s_mul_i32 s12, s12, 24
	s_add_i32 s11, s11, s5
	s_waitcnt vmcnt(0)
	v_add_co_u32 v1, vcc_lo, v6, s12
	v_add_co_ci_u32_e64 v2, null, s11, v7, vcc_lo
	global_store_dwordx2 v[1:2], v[13:14], off
	s_waitcnt_vscnt null, 0x0
	global_atomic_cmpswap_x2 v[8:9], v10, v[11:14], s[6:7] offset:24 glc
	s_waitcnt vmcnt(0)
	v_cmp_ne_u64_e32 vcc_lo, v[8:9], v[13:14]
	s_and_b32 exec_lo, exec_lo, vcc_lo
	s_cbranch_execz .LBB6_1634
; %bb.1632:
	s_mov_b32 s5, 0
.LBB6_1633:                             ; =>This Inner Loop Header: Depth=1
	v_mov_b32_e32 v6, s8
	v_mov_b32_e32 v7, s9
	s_sleep 1
	global_store_dwordx2 v[1:2], v[8:9], off
	s_waitcnt_vscnt null, 0x0
	global_atomic_cmpswap_x2 v[6:7], v10, v[6:9], s[6:7] offset:24 glc
	s_waitcnt vmcnt(0)
	v_cmp_eq_u64_e32 vcc_lo, v[6:7], v[8:9]
	v_mov_b32_e32 v9, v7
	v_mov_b32_e32 v8, v6
	s_or_b32 s5, vcc_lo, s5
	s_andn2_b32 exec_lo, exec_lo, s5
	s_cbranch_execnz .LBB6_1633
.LBB6_1634:
	s_or_b32 exec_lo, exec_lo, s10
	s_getpc_b64 s[8:9]
	s_add_u32 s8, s8, .str.45@rel32@lo+4
	s_addc_u32 s9, s9, .str.45@rel32@hi+12
	s_cmp_lg_u64 s[8:9], 0
	s_cbranch_scc0 .LBB6_1720
; %bb.1635:
	s_waitcnt vmcnt(0)
	v_and_b32_e32 v35, 2, v4
	v_mov_b32_e32 v11, 0
	v_and_b32_e32 v6, -3, v4
	v_mov_b32_e32 v7, v5
	v_mov_b32_e32 v12, 2
	;; [unrolled: 1-line block ×3, first 2 shown]
	s_mov_b64 s[10:11], 7
	s_branch .LBB6_1637
.LBB6_1636:                             ;   in Loop: Header=BB6_1637 Depth=1
	s_or_b32 exec_lo, exec_lo, s16
	s_sub_u32 s10, s10, s12
	s_subb_u32 s11, s11, s13
	s_add_u32 s8, s8, s12
	s_addc_u32 s9, s9, s13
	s_cmp_lg_u64 s[10:11], 0
	s_cbranch_scc0 .LBB6_1719
.LBB6_1637:                             ; =>This Loop Header: Depth=1
                                        ;     Child Loop BB6_1640 Depth 2
                                        ;     Child Loop BB6_1648 Depth 2
                                        ;     Child Loop BB6_1656 Depth 2
                                        ;     Child Loop BB6_1664 Depth 2
                                        ;     Child Loop BB6_1672 Depth 2
                                        ;     Child Loop BB6_1680 Depth 2
                                        ;     Child Loop BB6_1688 Depth 2
                                        ;     Child Loop BB6_1696 Depth 2
                                        ;     Child Loop BB6_1704 Depth 2
                                        ;     Child Loop BB6_1713 Depth 2
                                        ;     Child Loop BB6_1718 Depth 2
	v_cmp_lt_u64_e64 s5, s[10:11], 56
	v_cmp_gt_u64_e64 s16, s[10:11], 7
	s_and_b32 s5, s5, exec_lo
	s_cselect_b32 s13, s11, 0
	s_cselect_b32 s12, s10, 56
	s_add_u32 s14, s8, 8
	s_addc_u32 s15, s9, 0
	s_and_b32 vcc_lo, exec_lo, s16
	s_cbranch_vccnz .LBB6_1642
; %bb.1638:                             ;   in Loop: Header=BB6_1637 Depth=1
	v_mov_b32_e32 v8, 0
	v_mov_b32_e32 v9, 0
	s_cmp_eq_u64 s[10:11], 0
	s_cbranch_scc1 .LBB6_1641
; %bb.1639:                             ;   in Loop: Header=BB6_1637 Depth=1
	s_lshl_b64 s[14:15], s[12:13], 3
	s_mov_b64 s[16:17], 0
	s_mov_b64 s[18:19], s[8:9]
.LBB6_1640:                             ;   Parent Loop BB6_1637 Depth=1
                                        ; =>  This Inner Loop Header: Depth=2
	global_load_ubyte v1, v11, s[18:19]
	s_waitcnt vmcnt(0)
	v_and_b32_e32 v10, 0xffff, v1
	v_lshlrev_b64 v[1:2], s16, v[10:11]
	s_add_u32 s16, s16, 8
	s_addc_u32 s17, s17, 0
	s_add_u32 s18, s18, 1
	s_addc_u32 s19, s19, 0
	s_cmp_lg_u32 s14, s16
	v_or_b32_e32 v8, v1, v8
	v_or_b32_e32 v9, v2, v9
	s_cbranch_scc1 .LBB6_1640
.LBB6_1641:                             ;   in Loop: Header=BB6_1637 Depth=1
	s_mov_b32 s5, 0
	s_mov_b64 s[14:15], s[8:9]
	s_branch .LBB6_1643
.LBB6_1642:                             ;   in Loop: Header=BB6_1637 Depth=1
	s_mov_b32 s5, -1
.LBB6_1643:                             ;   in Loop: Header=BB6_1637 Depth=1
	s_andn2_b32 vcc_lo, exec_lo, s5
	s_mov_b32 s5, 0
	s_cbranch_vccnz .LBB6_1645
; %bb.1644:                             ;   in Loop: Header=BB6_1637 Depth=1
	global_load_dwordx2 v[8:9], v11, s[8:9]
	s_add_i32 s5, s12, -8
.LBB6_1645:                             ;   in Loop: Header=BB6_1637 Depth=1
	s_add_u32 s16, s14, 8
	s_addc_u32 s17, s15, 0
	s_cmp_gt_u32 s5, 7
	s_cbranch_scc1 .LBB6_1650
; %bb.1646:                             ;   in Loop: Header=BB6_1637 Depth=1
	v_mov_b32_e32 v14, 0
	v_mov_b32_e32 v15, 0
	s_cmp_eq_u32 s5, 0
	s_cbranch_scc1 .LBB6_1649
; %bb.1647:                             ;   in Loop: Header=BB6_1637 Depth=1
	s_mov_b64 s[16:17], 0
	s_mov_b64 s[18:19], 0
.LBB6_1648:                             ;   Parent Loop BB6_1637 Depth=1
                                        ; =>  This Inner Loop Header: Depth=2
	s_add_u32 s24, s14, s18
	s_addc_u32 s25, s15, s19
	s_add_u32 s18, s18, 1
	global_load_ubyte v1, v11, s[24:25]
	s_addc_u32 s19, s19, 0
	s_waitcnt vmcnt(0)
	v_and_b32_e32 v10, 0xffff, v1
	v_lshlrev_b64 v[1:2], s16, v[10:11]
	s_add_u32 s16, s16, 8
	s_addc_u32 s17, s17, 0
	s_cmp_lg_u32 s5, s18
	v_or_b32_e32 v14, v1, v14
	v_or_b32_e32 v15, v2, v15
	s_cbranch_scc1 .LBB6_1648
.LBB6_1649:                             ;   in Loop: Header=BB6_1637 Depth=1
	s_mov_b32 s18, 0
	s_mov_b64 s[16:17], s[14:15]
	s_branch .LBB6_1651
.LBB6_1650:                             ;   in Loop: Header=BB6_1637 Depth=1
	s_mov_b32 s18, -1
                                        ; implicit-def: $vgpr14_vgpr15
.LBB6_1651:                             ;   in Loop: Header=BB6_1637 Depth=1
	s_andn2_b32 vcc_lo, exec_lo, s18
	s_mov_b32 s23, 0
	s_cbranch_vccnz .LBB6_1653
; %bb.1652:                             ;   in Loop: Header=BB6_1637 Depth=1
	global_load_dwordx2 v[14:15], v11, s[14:15]
	s_add_i32 s23, s5, -8
.LBB6_1653:                             ;   in Loop: Header=BB6_1637 Depth=1
	s_add_u32 s14, s16, 8
	s_addc_u32 s15, s17, 0
	s_cmp_gt_u32 s23, 7
	s_cbranch_scc1 .LBB6_1658
; %bb.1654:                             ;   in Loop: Header=BB6_1637 Depth=1
	v_mov_b32_e32 v16, 0
	v_mov_b32_e32 v17, 0
	s_cmp_eq_u32 s23, 0
	s_cbranch_scc1 .LBB6_1657
; %bb.1655:                             ;   in Loop: Header=BB6_1637 Depth=1
	s_mov_b64 s[14:15], 0
	s_mov_b64 s[18:19], 0
.LBB6_1656:                             ;   Parent Loop BB6_1637 Depth=1
                                        ; =>  This Inner Loop Header: Depth=2
	s_add_u32 s24, s16, s18
	s_addc_u32 s25, s17, s19
	s_add_u32 s18, s18, 1
	global_load_ubyte v1, v11, s[24:25]
	s_addc_u32 s19, s19, 0
	s_waitcnt vmcnt(0)
	v_and_b32_e32 v10, 0xffff, v1
	v_lshlrev_b64 v[1:2], s14, v[10:11]
	s_add_u32 s14, s14, 8
	s_addc_u32 s15, s15, 0
	s_cmp_lg_u32 s23, s18
	v_or_b32_e32 v16, v1, v16
	v_or_b32_e32 v17, v2, v17
	s_cbranch_scc1 .LBB6_1656
.LBB6_1657:                             ;   in Loop: Header=BB6_1637 Depth=1
	s_mov_b32 s5, 0
	s_mov_b64 s[14:15], s[16:17]
	s_branch .LBB6_1659
.LBB6_1658:                             ;   in Loop: Header=BB6_1637 Depth=1
	s_mov_b32 s5, -1
.LBB6_1659:                             ;   in Loop: Header=BB6_1637 Depth=1
	s_andn2_b32 vcc_lo, exec_lo, s5
	s_mov_b32 s5, 0
	s_cbranch_vccnz .LBB6_1661
; %bb.1660:                             ;   in Loop: Header=BB6_1637 Depth=1
	global_load_dwordx2 v[16:17], v11, s[16:17]
	s_add_i32 s5, s23, -8
.LBB6_1661:                             ;   in Loop: Header=BB6_1637 Depth=1
	s_add_u32 s16, s14, 8
	s_addc_u32 s17, s15, 0
	s_cmp_gt_u32 s5, 7
	s_cbranch_scc1 .LBB6_1666
; %bb.1662:                             ;   in Loop: Header=BB6_1637 Depth=1
	v_mov_b32_e32 v18, 0
	v_mov_b32_e32 v19, 0
	s_cmp_eq_u32 s5, 0
	s_cbranch_scc1 .LBB6_1665
; %bb.1663:                             ;   in Loop: Header=BB6_1637 Depth=1
	s_mov_b64 s[16:17], 0
	s_mov_b64 s[18:19], 0
.LBB6_1664:                             ;   Parent Loop BB6_1637 Depth=1
                                        ; =>  This Inner Loop Header: Depth=2
	s_add_u32 s24, s14, s18
	s_addc_u32 s25, s15, s19
	s_add_u32 s18, s18, 1
	global_load_ubyte v1, v11, s[24:25]
	s_addc_u32 s19, s19, 0
	s_waitcnt vmcnt(0)
	v_and_b32_e32 v10, 0xffff, v1
	v_lshlrev_b64 v[1:2], s16, v[10:11]
	s_add_u32 s16, s16, 8
	s_addc_u32 s17, s17, 0
	s_cmp_lg_u32 s5, s18
	v_or_b32_e32 v18, v1, v18
	v_or_b32_e32 v19, v2, v19
	s_cbranch_scc1 .LBB6_1664
.LBB6_1665:                             ;   in Loop: Header=BB6_1637 Depth=1
	s_mov_b32 s18, 0
	s_mov_b64 s[16:17], s[14:15]
	s_branch .LBB6_1667
.LBB6_1666:                             ;   in Loop: Header=BB6_1637 Depth=1
	s_mov_b32 s18, -1
                                        ; implicit-def: $vgpr18_vgpr19
.LBB6_1667:                             ;   in Loop: Header=BB6_1637 Depth=1
	s_andn2_b32 vcc_lo, exec_lo, s18
	s_mov_b32 s23, 0
	s_cbranch_vccnz .LBB6_1669
; %bb.1668:                             ;   in Loop: Header=BB6_1637 Depth=1
	global_load_dwordx2 v[18:19], v11, s[14:15]
	s_add_i32 s23, s5, -8
.LBB6_1669:                             ;   in Loop: Header=BB6_1637 Depth=1
	s_add_u32 s14, s16, 8
	s_addc_u32 s15, s17, 0
	s_cmp_gt_u32 s23, 7
	s_cbranch_scc1 .LBB6_1674
; %bb.1670:                             ;   in Loop: Header=BB6_1637 Depth=1
	v_mov_b32_e32 v20, 0
	v_mov_b32_e32 v21, 0
	s_cmp_eq_u32 s23, 0
	s_cbranch_scc1 .LBB6_1673
; %bb.1671:                             ;   in Loop: Header=BB6_1637 Depth=1
	s_mov_b64 s[14:15], 0
	s_mov_b64 s[18:19], 0
.LBB6_1672:                             ;   Parent Loop BB6_1637 Depth=1
                                        ; =>  This Inner Loop Header: Depth=2
	s_add_u32 s24, s16, s18
	s_addc_u32 s25, s17, s19
	s_add_u32 s18, s18, 1
	global_load_ubyte v1, v11, s[24:25]
	s_addc_u32 s19, s19, 0
	s_waitcnt vmcnt(0)
	v_and_b32_e32 v10, 0xffff, v1
	v_lshlrev_b64 v[1:2], s14, v[10:11]
	s_add_u32 s14, s14, 8
	s_addc_u32 s15, s15, 0
	s_cmp_lg_u32 s23, s18
	v_or_b32_e32 v20, v1, v20
	v_or_b32_e32 v21, v2, v21
	s_cbranch_scc1 .LBB6_1672
.LBB6_1673:                             ;   in Loop: Header=BB6_1637 Depth=1
	s_mov_b32 s5, 0
	s_mov_b64 s[14:15], s[16:17]
	s_branch .LBB6_1675
.LBB6_1674:                             ;   in Loop: Header=BB6_1637 Depth=1
	s_mov_b32 s5, -1
.LBB6_1675:                             ;   in Loop: Header=BB6_1637 Depth=1
	s_andn2_b32 vcc_lo, exec_lo, s5
	s_mov_b32 s5, 0
	s_cbranch_vccnz .LBB6_1677
; %bb.1676:                             ;   in Loop: Header=BB6_1637 Depth=1
	global_load_dwordx2 v[20:21], v11, s[16:17]
	s_add_i32 s5, s23, -8
.LBB6_1677:                             ;   in Loop: Header=BB6_1637 Depth=1
	s_add_u32 s16, s14, 8
	s_addc_u32 s17, s15, 0
	s_cmp_gt_u32 s5, 7
	s_cbranch_scc1 .LBB6_1682
; %bb.1678:                             ;   in Loop: Header=BB6_1637 Depth=1
	v_mov_b32_e32 v22, 0
	v_mov_b32_e32 v23, 0
	s_cmp_eq_u32 s5, 0
	s_cbranch_scc1 .LBB6_1681
; %bb.1679:                             ;   in Loop: Header=BB6_1637 Depth=1
	s_mov_b64 s[16:17], 0
	s_mov_b64 s[18:19], 0
.LBB6_1680:                             ;   Parent Loop BB6_1637 Depth=1
                                        ; =>  This Inner Loop Header: Depth=2
	s_add_u32 s24, s14, s18
	s_addc_u32 s25, s15, s19
	s_add_u32 s18, s18, 1
	global_load_ubyte v1, v11, s[24:25]
	s_addc_u32 s19, s19, 0
	s_waitcnt vmcnt(0)
	v_and_b32_e32 v10, 0xffff, v1
	v_lshlrev_b64 v[1:2], s16, v[10:11]
	s_add_u32 s16, s16, 8
	s_addc_u32 s17, s17, 0
	s_cmp_lg_u32 s5, s18
	v_or_b32_e32 v22, v1, v22
	v_or_b32_e32 v23, v2, v23
	s_cbranch_scc1 .LBB6_1680
.LBB6_1681:                             ;   in Loop: Header=BB6_1637 Depth=1
	s_mov_b32 s18, 0
	s_mov_b64 s[16:17], s[14:15]
	s_branch .LBB6_1683
.LBB6_1682:                             ;   in Loop: Header=BB6_1637 Depth=1
	s_mov_b32 s18, -1
                                        ; implicit-def: $vgpr22_vgpr23
.LBB6_1683:                             ;   in Loop: Header=BB6_1637 Depth=1
	s_andn2_b32 vcc_lo, exec_lo, s18
	s_mov_b32 s23, 0
	s_cbranch_vccnz .LBB6_1685
; %bb.1684:                             ;   in Loop: Header=BB6_1637 Depth=1
	global_load_dwordx2 v[22:23], v11, s[14:15]
	s_add_i32 s23, s5, -8
.LBB6_1685:                             ;   in Loop: Header=BB6_1637 Depth=1
	s_cmp_gt_u32 s23, 7
	s_cbranch_scc1 .LBB6_1690
; %bb.1686:                             ;   in Loop: Header=BB6_1637 Depth=1
	v_mov_b32_e32 v24, 0
	v_mov_b32_e32 v25, 0
	s_cmp_eq_u32 s23, 0
	s_cbranch_scc1 .LBB6_1689
; %bb.1687:                             ;   in Loop: Header=BB6_1637 Depth=1
	s_mov_b64 s[14:15], 0
	s_mov_b64 s[18:19], s[16:17]
.LBB6_1688:                             ;   Parent Loop BB6_1637 Depth=1
                                        ; =>  This Inner Loop Header: Depth=2
	global_load_ubyte v1, v11, s[18:19]
	s_add_i32 s23, s23, -1
	s_waitcnt vmcnt(0)
	v_and_b32_e32 v10, 0xffff, v1
	v_lshlrev_b64 v[1:2], s14, v[10:11]
	s_add_u32 s14, s14, 8
	s_addc_u32 s15, s15, 0
	s_add_u32 s18, s18, 1
	s_addc_u32 s19, s19, 0
	s_cmp_lg_u32 s23, 0
	v_or_b32_e32 v24, v1, v24
	v_or_b32_e32 v25, v2, v25
	s_cbranch_scc1 .LBB6_1688
.LBB6_1689:                             ;   in Loop: Header=BB6_1637 Depth=1
	s_mov_b32 s5, 0
	s_branch .LBB6_1691
.LBB6_1690:                             ;   in Loop: Header=BB6_1637 Depth=1
	s_mov_b32 s5, -1
.LBB6_1691:                             ;   in Loop: Header=BB6_1637 Depth=1
	s_andn2_b32 vcc_lo, exec_lo, s5
	s_cbranch_vccnz .LBB6_1693
; %bb.1692:                             ;   in Loop: Header=BB6_1637 Depth=1
	global_load_dwordx2 v[24:25], v11, s[16:17]
.LBB6_1693:                             ;   in Loop: Header=BB6_1637 Depth=1
	v_readfirstlane_b32 s5, v33
	v_mov_b32_e32 v1, 0
	v_mov_b32_e32 v2, 0
	v_cmp_eq_u32_e64 s5, s5, v33
	s_and_saveexec_b32 s14, s5
	s_cbranch_execz .LBB6_1699
; %bb.1694:                             ;   in Loop: Header=BB6_1637 Depth=1
	global_load_dwordx2 v[28:29], v11, s[6:7] offset:24 glc dlc
	s_waitcnt vmcnt(0)
	buffer_gl1_inv
	buffer_gl0_inv
	s_clause 0x1
	global_load_dwordx2 v[1:2], v11, s[6:7] offset:40
	global_load_dwordx2 v[26:27], v11, s[6:7]
	s_mov_b32 s15, exec_lo
	s_waitcnt vmcnt(1)
	v_and_b32_e32 v2, v2, v29
	v_and_b32_e32 v1, v1, v28
	v_mul_lo_u32 v2, v2, 24
	v_mul_hi_u32 v10, v1, 24
	v_mul_lo_u32 v1, v1, 24
	v_add_nc_u32_e32 v2, v10, v2
	s_waitcnt vmcnt(0)
	v_add_co_u32 v1, vcc_lo, v26, v1
	v_add_co_ci_u32_e64 v2, null, v27, v2, vcc_lo
	global_load_dwordx2 v[26:27], v[1:2], off glc dlc
	s_waitcnt vmcnt(0)
	global_atomic_cmpswap_x2 v[1:2], v11, v[26:29], s[6:7] offset:24 glc
	s_waitcnt vmcnt(0)
	buffer_gl1_inv
	buffer_gl0_inv
	v_cmpx_ne_u64_e64 v[1:2], v[28:29]
	s_cbranch_execz .LBB6_1698
; %bb.1695:                             ;   in Loop: Header=BB6_1637 Depth=1
	s_mov_b32 s16, 0
.LBB6_1696:                             ;   Parent Loop BB6_1637 Depth=1
                                        ; =>  This Inner Loop Header: Depth=2
	s_sleep 1
	s_clause 0x1
	global_load_dwordx2 v[26:27], v11, s[6:7] offset:40
	global_load_dwordx2 v[36:37], v11, s[6:7]
	v_mov_b32_e32 v29, v2
	v_mov_b32_e32 v28, v1
	s_waitcnt vmcnt(1)
	v_and_b32_e32 v1, v26, v28
	v_and_b32_e32 v10, v27, v29
	s_waitcnt vmcnt(0)
	v_mad_u64_u32 v[1:2], null, v1, 24, v[36:37]
	v_mad_u64_u32 v[26:27], null, v10, 24, v[2:3]
	v_mov_b32_e32 v2, v26
	global_load_dwordx2 v[26:27], v[1:2], off glc dlc
	s_waitcnt vmcnt(0)
	global_atomic_cmpswap_x2 v[1:2], v11, v[26:29], s[6:7] offset:24 glc
	s_waitcnt vmcnt(0)
	buffer_gl1_inv
	buffer_gl0_inv
	v_cmp_eq_u64_e32 vcc_lo, v[1:2], v[28:29]
	s_or_b32 s16, vcc_lo, s16
	s_andn2_b32 exec_lo, exec_lo, s16
	s_cbranch_execnz .LBB6_1696
; %bb.1697:                             ;   in Loop: Header=BB6_1637 Depth=1
	s_or_b32 exec_lo, exec_lo, s16
.LBB6_1698:                             ;   in Loop: Header=BB6_1637 Depth=1
	s_or_b32 exec_lo, exec_lo, s15
.LBB6_1699:                             ;   in Loop: Header=BB6_1637 Depth=1
	s_or_b32 exec_lo, exec_lo, s14
	s_clause 0x1
	global_load_dwordx2 v[36:37], v11, s[6:7] offset:40
	global_load_dwordx4 v[26:29], v11, s[6:7]
	v_readfirstlane_b32 s15, v2
	v_readfirstlane_b32 s14, v1
	s_mov_b32 s18, exec_lo
	s_waitcnt vmcnt(1)
	v_readfirstlane_b32 s16, v36
	v_readfirstlane_b32 s17, v37
	s_and_b64 s[16:17], s[16:17], s[14:15]
	s_mul_i32 s19, s17, 24
	s_mul_hi_u32 s23, s16, 24
	s_mul_i32 s24, s16, 24
	s_add_i32 s23, s23, s19
	s_waitcnt vmcnt(0)
	v_add_co_u32 v1, vcc_lo, v26, s24
	v_add_co_ci_u32_e64 v2, null, s23, v27, vcc_lo
	s_and_saveexec_b32 s19, s5
	s_cbranch_execz .LBB6_1701
; %bb.1700:                             ;   in Loop: Header=BB6_1637 Depth=1
	v_mov_b32_e32 v10, s18
	global_store_dwordx4 v[1:2], v[10:13], off offset:8
.LBB6_1701:                             ;   in Loop: Header=BB6_1637 Depth=1
	s_or_b32 exec_lo, exec_lo, s19
	v_cmp_lt_u64_e64 vcc_lo, s[10:11], 57
	s_lshl_b64 s[16:17], s[16:17], 12
	v_and_b32_e32 v6, 0xffffff1f, v6
	v_cndmask_b32_e32 v10, 0, v35, vcc_lo
	v_add_co_u32 v28, vcc_lo, v28, s16
	v_add_co_ci_u32_e64 v29, null, s17, v29, vcc_lo
	v_or_b32_e32 v6, v6, v10
	s_lshl_b32 s16, s12, 2
	s_add_i32 s18, s16, 28
	v_readfirstlane_b32 s16, v28
	v_readfirstlane_b32 s17, v29
	v_and_or_b32 v6, 0x1e0, s18, v6
	global_store_dwordx4 v32, v[14:17], s[16:17] offset:16
	global_store_dwordx4 v32, v[6:9], s[16:17]
	global_store_dwordx4 v32, v[18:21], s[16:17] offset:32
	global_store_dwordx4 v32, v[22:25], s[16:17] offset:48
	s_and_saveexec_b32 s16, s5
	s_cbranch_execz .LBB6_1709
; %bb.1702:                             ;   in Loop: Header=BB6_1637 Depth=1
	s_clause 0x1
	global_load_dwordx2 v[18:19], v11, s[6:7] offset:32 glc dlc
	global_load_dwordx2 v[6:7], v11, s[6:7] offset:40
	v_mov_b32_e32 v16, s14
	v_mov_b32_e32 v17, s15
	s_waitcnt vmcnt(0)
	v_readfirstlane_b32 s18, v6
	v_readfirstlane_b32 s19, v7
	s_and_b64 s[18:19], s[18:19], s[14:15]
	s_mul_i32 s17, s19, 24
	s_mul_hi_u32 s19, s18, 24
	s_mul_i32 s18, s18, 24
	s_add_i32 s19, s19, s17
	v_add_co_u32 v14, vcc_lo, v26, s18
	v_add_co_ci_u32_e64 v15, null, s19, v27, vcc_lo
	s_mov_b32 s17, exec_lo
	global_store_dwordx2 v[14:15], v[18:19], off
	s_waitcnt_vscnt null, 0x0
	global_atomic_cmpswap_x2 v[8:9], v11, v[16:19], s[6:7] offset:32 glc
	s_waitcnt vmcnt(0)
	v_cmpx_ne_u64_e64 v[8:9], v[18:19]
	s_cbranch_execz .LBB6_1705
; %bb.1703:                             ;   in Loop: Header=BB6_1637 Depth=1
	s_mov_b32 s18, 0
.LBB6_1704:                             ;   Parent Loop BB6_1637 Depth=1
                                        ; =>  This Inner Loop Header: Depth=2
	v_mov_b32_e32 v6, s14
	v_mov_b32_e32 v7, s15
	s_sleep 1
	global_store_dwordx2 v[14:15], v[8:9], off
	s_waitcnt_vscnt null, 0x0
	global_atomic_cmpswap_x2 v[6:7], v11, v[6:9], s[6:7] offset:32 glc
	s_waitcnt vmcnt(0)
	v_cmp_eq_u64_e32 vcc_lo, v[6:7], v[8:9]
	v_mov_b32_e32 v9, v7
	v_mov_b32_e32 v8, v6
	s_or_b32 s18, vcc_lo, s18
	s_andn2_b32 exec_lo, exec_lo, s18
	s_cbranch_execnz .LBB6_1704
.LBB6_1705:                             ;   in Loop: Header=BB6_1637 Depth=1
	s_or_b32 exec_lo, exec_lo, s17
	global_load_dwordx2 v[6:7], v11, s[6:7] offset:16
	s_mov_b32 s18, exec_lo
	s_mov_b32 s17, exec_lo
	v_mbcnt_lo_u32_b32 v8, s18, 0
	v_cmpx_eq_u32_e32 0, v8
	s_cbranch_execz .LBB6_1707
; %bb.1706:                             ;   in Loop: Header=BB6_1637 Depth=1
	s_bcnt1_i32_b32 s18, s18
	v_mov_b32_e32 v10, s18
	s_waitcnt vmcnt(0)
	global_atomic_add_x2 v[6:7], v[10:11], off offset:8
.LBB6_1707:                             ;   in Loop: Header=BB6_1637 Depth=1
	s_or_b32 exec_lo, exec_lo, s17
	s_waitcnt vmcnt(0)
	global_load_dwordx2 v[8:9], v[6:7], off offset:16
	s_waitcnt vmcnt(0)
	v_cmp_eq_u64_e32 vcc_lo, 0, v[8:9]
	s_cbranch_vccnz .LBB6_1709
; %bb.1708:                             ;   in Loop: Header=BB6_1637 Depth=1
	global_load_dword v10, v[6:7], off offset:24
	s_waitcnt vmcnt(0)
	v_readfirstlane_b32 s17, v10
	s_waitcnt_vscnt null, 0x0
	global_store_dwordx2 v[8:9], v[10:11], off
	s_and_b32 m0, s17, 0x7fffff
	s_sendmsg sendmsg(MSG_INTERRUPT)
.LBB6_1709:                             ;   in Loop: Header=BB6_1637 Depth=1
	s_or_b32 exec_lo, exec_lo, s16
	v_add_co_u32 v6, vcc_lo, v28, v32
	v_add_co_ci_u32_e64 v7, null, 0, v29, vcc_lo
	s_branch .LBB6_1713
.LBB6_1710:                             ;   in Loop: Header=BB6_1713 Depth=2
	s_or_b32 exec_lo, exec_lo, s16
	v_readfirstlane_b32 s16, v8
	s_cmp_eq_u32 s16, 0
	s_cbranch_scc1 .LBB6_1712
; %bb.1711:                             ;   in Loop: Header=BB6_1713 Depth=2
	s_sleep 1
	s_cbranch_execnz .LBB6_1713
	s_branch .LBB6_1715
.LBB6_1712:                             ;   in Loop: Header=BB6_1637 Depth=1
	s_branch .LBB6_1715
.LBB6_1713:                             ;   Parent Loop BB6_1637 Depth=1
                                        ; =>  This Inner Loop Header: Depth=2
	v_mov_b32_e32 v8, 1
	s_and_saveexec_b32 s16, s5
	s_cbranch_execz .LBB6_1710
; %bb.1714:                             ;   in Loop: Header=BB6_1713 Depth=2
	global_load_dword v8, v[1:2], off offset:20 glc dlc
	s_waitcnt vmcnt(0)
	buffer_gl1_inv
	buffer_gl0_inv
	v_and_b32_e32 v8, 1, v8
	s_branch .LBB6_1710
.LBB6_1715:                             ;   in Loop: Header=BB6_1637 Depth=1
	global_load_dwordx2 v[6:7], v[6:7], off
	s_and_saveexec_b32 s16, s5
	s_cbranch_execz .LBB6_1636
; %bb.1716:                             ;   in Loop: Header=BB6_1637 Depth=1
	s_clause 0x2
	global_load_dwordx2 v[1:2], v11, s[6:7] offset:40
	global_load_dwordx2 v[18:19], v11, s[6:7] offset:24 glc dlc
	global_load_dwordx2 v[8:9], v11, s[6:7]
	s_waitcnt vmcnt(2)
	v_readfirstlane_b32 s18, v1
	v_readfirstlane_b32 s19, v2
	s_add_u32 s5, s18, 1
	s_addc_u32 s17, s19, 0
	s_add_u32 s14, s5, s14
	s_addc_u32 s15, s17, s15
	s_cmp_eq_u64 s[14:15], 0
	s_cselect_b32 s15, s17, s15
	s_cselect_b32 s14, s5, s14
	v_mov_b32_e32 v17, s15
	s_and_b64 s[18:19], s[14:15], s[18:19]
	v_mov_b32_e32 v16, s14
	s_mul_i32 s5, s19, 24
	s_mul_hi_u32 s17, s18, 24
	s_mul_i32 s18, s18, 24
	s_add_i32 s17, s17, s5
	s_waitcnt vmcnt(0)
	v_add_co_u32 v1, vcc_lo, v8, s18
	v_add_co_ci_u32_e64 v2, null, s17, v9, vcc_lo
	global_store_dwordx2 v[1:2], v[18:19], off
	s_waitcnt_vscnt null, 0x0
	global_atomic_cmpswap_x2 v[16:17], v11, v[16:19], s[6:7] offset:24 glc
	s_waitcnt vmcnt(0)
	v_cmp_ne_u64_e32 vcc_lo, v[16:17], v[18:19]
	s_and_b32 exec_lo, exec_lo, vcc_lo
	s_cbranch_execz .LBB6_1636
; %bb.1717:                             ;   in Loop: Header=BB6_1637 Depth=1
	s_mov_b32 s5, 0
.LBB6_1718:                             ;   Parent Loop BB6_1637 Depth=1
                                        ; =>  This Inner Loop Header: Depth=2
	v_mov_b32_e32 v14, s14
	v_mov_b32_e32 v15, s15
	s_sleep 1
	global_store_dwordx2 v[1:2], v[16:17], off
	s_waitcnt_vscnt null, 0x0
	global_atomic_cmpswap_x2 v[8:9], v11, v[14:17], s[6:7] offset:24 glc
	s_waitcnt vmcnt(0)
	v_cmp_eq_u64_e32 vcc_lo, v[8:9], v[16:17]
	v_mov_b32_e32 v17, v9
	v_mov_b32_e32 v16, v8
	s_or_b32 s5, vcc_lo, s5
	s_andn2_b32 exec_lo, exec_lo, s5
	s_cbranch_execnz .LBB6_1718
	s_branch .LBB6_1636
.LBB6_1719:
	s_mov_b32 s5, 0
	s_branch .LBB6_1721
.LBB6_1720:
	s_mov_b32 s5, -1
                                        ; implicit-def: $vgpr6_vgpr7
.LBB6_1721:
	s_and_b32 vcc_lo, exec_lo, s5
	s_cbranch_vccz .LBB6_1749
; %bb.1722:
	v_readfirstlane_b32 s5, v33
	v_mov_b32_e32 v1, 0
	v_mov_b32_e32 v2, 0
	v_cmp_eq_u32_e64 s5, s5, v33
	s_and_saveexec_b32 s8, s5
	s_cbranch_execz .LBB6_1728
; %bb.1723:
	s_waitcnt vmcnt(0)
	v_mov_b32_e32 v6, 0
	s_mov_b32 s9, exec_lo
	global_load_dwordx2 v[9:10], v6, s[6:7] offset:24 glc dlc
	s_waitcnt vmcnt(0)
	buffer_gl1_inv
	buffer_gl0_inv
	s_clause 0x1
	global_load_dwordx2 v[1:2], v6, s[6:7] offset:40
	global_load_dwordx2 v[7:8], v6, s[6:7]
	s_waitcnt vmcnt(1)
	v_and_b32_e32 v2, v2, v10
	v_and_b32_e32 v1, v1, v9
	v_mul_lo_u32 v2, v2, 24
	v_mul_hi_u32 v11, v1, 24
	v_mul_lo_u32 v1, v1, 24
	v_add_nc_u32_e32 v2, v11, v2
	s_waitcnt vmcnt(0)
	v_add_co_u32 v1, vcc_lo, v7, v1
	v_add_co_ci_u32_e64 v2, null, v8, v2, vcc_lo
	global_load_dwordx2 v[7:8], v[1:2], off glc dlc
	s_waitcnt vmcnt(0)
	global_atomic_cmpswap_x2 v[1:2], v6, v[7:10], s[6:7] offset:24 glc
	s_waitcnt vmcnt(0)
	buffer_gl1_inv
	buffer_gl0_inv
	v_cmpx_ne_u64_e64 v[1:2], v[9:10]
	s_cbranch_execz .LBB6_1727
; %bb.1724:
	s_mov_b32 s10, 0
.LBB6_1725:                             ; =>This Inner Loop Header: Depth=1
	s_sleep 1
	s_clause 0x1
	global_load_dwordx2 v[7:8], v6, s[6:7] offset:40
	global_load_dwordx2 v[11:12], v6, s[6:7]
	v_mov_b32_e32 v10, v2
	v_mov_b32_e32 v9, v1
	s_waitcnt vmcnt(1)
	v_and_b32_e32 v1, v7, v9
	v_and_b32_e32 v7, v8, v10
	s_waitcnt vmcnt(0)
	v_mad_u64_u32 v[1:2], null, v1, 24, v[11:12]
	v_mad_u64_u32 v[7:8], null, v7, 24, v[2:3]
	v_mov_b32_e32 v2, v7
	global_load_dwordx2 v[7:8], v[1:2], off glc dlc
	s_waitcnt vmcnt(0)
	global_atomic_cmpswap_x2 v[1:2], v6, v[7:10], s[6:7] offset:24 glc
	s_waitcnt vmcnt(0)
	buffer_gl1_inv
	buffer_gl0_inv
	v_cmp_eq_u64_e32 vcc_lo, v[1:2], v[9:10]
	s_or_b32 s10, vcc_lo, s10
	s_andn2_b32 exec_lo, exec_lo, s10
	s_cbranch_execnz .LBB6_1725
; %bb.1726:
	s_or_b32 exec_lo, exec_lo, s10
.LBB6_1727:
	s_or_b32 exec_lo, exec_lo, s9
.LBB6_1728:
	s_or_b32 exec_lo, exec_lo, s8
	s_waitcnt vmcnt(0)
	v_mov_b32_e32 v6, 0
	v_readfirstlane_b32 s9, v2
	v_readfirstlane_b32 s8, v1
	s_mov_b32 s12, exec_lo
	s_clause 0x1
	global_load_dwordx2 v[12:13], v6, s[6:7] offset:40
	global_load_dwordx4 v[8:11], v6, s[6:7]
	s_waitcnt vmcnt(1)
	v_readfirstlane_b32 s10, v12
	v_readfirstlane_b32 s11, v13
	s_and_b64 s[10:11], s[10:11], s[8:9]
	s_mul_i32 s13, s11, 24
	s_mul_hi_u32 s14, s10, 24
	s_mul_i32 s15, s10, 24
	s_add_i32 s14, s14, s13
	s_waitcnt vmcnt(0)
	v_add_co_u32 v1, vcc_lo, v8, s15
	v_add_co_ci_u32_e64 v2, null, s14, v9, vcc_lo
	s_and_saveexec_b32 s13, s5
	s_cbranch_execz .LBB6_1730
; %bb.1729:
	v_mov_b32_e32 v12, s12
	v_mov_b32_e32 v13, v6
	;; [unrolled: 1-line block ×4, first 2 shown]
	global_store_dwordx4 v[1:2], v[12:15], off offset:8
.LBB6_1730:
	s_or_b32 exec_lo, exec_lo, s13
	s_lshl_b64 s[10:11], s[10:11], 12
	s_mov_b32 s12, 0
	v_add_co_u32 v10, vcc_lo, v10, s10
	v_add_co_ci_u32_e64 v11, null, s11, v11, vcc_lo
	s_mov_b32 s13, s12
	v_readfirstlane_b32 s10, v10
	v_add_co_u32 v10, vcc_lo, v10, v32
	s_mov_b32 s14, s12
	s_mov_b32 s15, s12
	v_and_or_b32 v4, 0xffffff1f, v4, 32
	v_mov_b32_e32 v7, v6
	v_readfirstlane_b32 s11, v11
	v_mov_b32_e32 v12, s12
	v_add_co_ci_u32_e64 v11, null, 0, v11, vcc_lo
	v_mov_b32_e32 v13, s13
	v_mov_b32_e32 v14, s14
	;; [unrolled: 1-line block ×3, first 2 shown]
	global_store_dwordx4 v32, v[4:7], s[10:11]
	global_store_dwordx4 v32, v[12:15], s[10:11] offset:16
	global_store_dwordx4 v32, v[12:15], s[10:11] offset:32
	;; [unrolled: 1-line block ×3, first 2 shown]
	s_and_saveexec_b32 s10, s5
	s_cbranch_execz .LBB6_1738
; %bb.1731:
	v_mov_b32_e32 v12, 0
	v_mov_b32_e32 v13, s8
	;; [unrolled: 1-line block ×3, first 2 shown]
	s_clause 0x1
	global_load_dwordx2 v[15:16], v12, s[6:7] offset:32 glc dlc
	global_load_dwordx2 v[4:5], v12, s[6:7] offset:40
	s_waitcnt vmcnt(0)
	v_readfirstlane_b32 s12, v4
	v_readfirstlane_b32 s13, v5
	s_and_b64 s[12:13], s[12:13], s[8:9]
	s_mul_i32 s11, s13, 24
	s_mul_hi_u32 s13, s12, 24
	s_mul_i32 s12, s12, 24
	s_add_i32 s13, s13, s11
	v_add_co_u32 v8, vcc_lo, v8, s12
	v_add_co_ci_u32_e64 v9, null, s13, v9, vcc_lo
	s_mov_b32 s11, exec_lo
	global_store_dwordx2 v[8:9], v[15:16], off
	s_waitcnt_vscnt null, 0x0
	global_atomic_cmpswap_x2 v[6:7], v12, v[13:16], s[6:7] offset:32 glc
	s_waitcnt vmcnt(0)
	v_cmpx_ne_u64_e64 v[6:7], v[15:16]
	s_cbranch_execz .LBB6_1734
; %bb.1732:
	s_mov_b32 s12, 0
.LBB6_1733:                             ; =>This Inner Loop Header: Depth=1
	v_mov_b32_e32 v4, s8
	v_mov_b32_e32 v5, s9
	s_sleep 1
	global_store_dwordx2 v[8:9], v[6:7], off
	s_waitcnt_vscnt null, 0x0
	global_atomic_cmpswap_x2 v[4:5], v12, v[4:7], s[6:7] offset:32 glc
	s_waitcnt vmcnt(0)
	v_cmp_eq_u64_e32 vcc_lo, v[4:5], v[6:7]
	v_mov_b32_e32 v7, v5
	v_mov_b32_e32 v6, v4
	s_or_b32 s12, vcc_lo, s12
	s_andn2_b32 exec_lo, exec_lo, s12
	s_cbranch_execnz .LBB6_1733
.LBB6_1734:
	s_or_b32 exec_lo, exec_lo, s11
	v_mov_b32_e32 v7, 0
	s_mov_b32 s12, exec_lo
	s_mov_b32 s11, exec_lo
	v_mbcnt_lo_u32_b32 v6, s12, 0
	global_load_dwordx2 v[4:5], v7, s[6:7] offset:16
	v_cmpx_eq_u32_e32 0, v6
	s_cbranch_execz .LBB6_1736
; %bb.1735:
	s_bcnt1_i32_b32 s12, s12
	v_mov_b32_e32 v6, s12
	s_waitcnt vmcnt(0)
	global_atomic_add_x2 v[4:5], v[6:7], off offset:8
.LBB6_1736:
	s_or_b32 exec_lo, exec_lo, s11
	s_waitcnt vmcnt(0)
	global_load_dwordx2 v[6:7], v[4:5], off offset:16
	s_waitcnt vmcnt(0)
	v_cmp_eq_u64_e32 vcc_lo, 0, v[6:7]
	s_cbranch_vccnz .LBB6_1738
; %bb.1737:
	global_load_dword v4, v[4:5], off offset:24
	v_mov_b32_e32 v5, 0
	s_waitcnt vmcnt(0)
	v_readfirstlane_b32 s11, v4
	s_waitcnt_vscnt null, 0x0
	global_store_dwordx2 v[6:7], v[4:5], off
	s_and_b32 m0, s11, 0x7fffff
	s_sendmsg sendmsg(MSG_INTERRUPT)
.LBB6_1738:
	s_or_b32 exec_lo, exec_lo, s10
	s_branch .LBB6_1742
.LBB6_1739:                             ;   in Loop: Header=BB6_1742 Depth=1
	s_or_b32 exec_lo, exec_lo, s10
	v_readfirstlane_b32 s10, v4
	s_cmp_eq_u32 s10, 0
	s_cbranch_scc1 .LBB6_1741
; %bb.1740:                             ;   in Loop: Header=BB6_1742 Depth=1
	s_sleep 1
	s_cbranch_execnz .LBB6_1742
	s_branch .LBB6_1744
.LBB6_1741:
	s_branch .LBB6_1744
.LBB6_1742:                             ; =>This Inner Loop Header: Depth=1
	v_mov_b32_e32 v4, 1
	s_and_saveexec_b32 s10, s5
	s_cbranch_execz .LBB6_1739
; %bb.1743:                             ;   in Loop: Header=BB6_1742 Depth=1
	global_load_dword v4, v[1:2], off offset:20 glc dlc
	s_waitcnt vmcnt(0)
	buffer_gl1_inv
	buffer_gl0_inv
	v_and_b32_e32 v4, 1, v4
	s_branch .LBB6_1739
.LBB6_1744:
	global_load_dwordx2 v[6:7], v[10:11], off
	s_and_saveexec_b32 s10, s5
	s_cbranch_execz .LBB6_1748
; %bb.1745:
	v_mov_b32_e32 v4, 0
	s_clause 0x2
	global_load_dwordx2 v[1:2], v4, s[6:7] offset:40
	global_load_dwordx2 v[12:13], v4, s[6:7] offset:24 glc dlc
	global_load_dwordx2 v[8:9], v4, s[6:7]
	s_waitcnt vmcnt(2)
	v_readfirstlane_b32 s12, v1
	v_readfirstlane_b32 s13, v2
	s_add_u32 s5, s12, 1
	s_addc_u32 s11, s13, 0
	s_add_u32 s8, s5, s8
	s_addc_u32 s9, s11, s9
	s_cmp_eq_u64 s[8:9], 0
	s_cselect_b32 s9, s11, s9
	s_cselect_b32 s8, s5, s8
	v_mov_b32_e32 v11, s9
	s_and_b64 s[12:13], s[8:9], s[12:13]
	v_mov_b32_e32 v10, s8
	s_mul_i32 s5, s13, 24
	s_mul_hi_u32 s11, s12, 24
	s_mul_i32 s12, s12, 24
	s_add_i32 s11, s11, s5
	s_waitcnt vmcnt(0)
	v_add_co_u32 v1, vcc_lo, v8, s12
	v_add_co_ci_u32_e64 v2, null, s11, v9, vcc_lo
	global_store_dwordx2 v[1:2], v[12:13], off
	s_waitcnt_vscnt null, 0x0
	global_atomic_cmpswap_x2 v[10:11], v4, v[10:13], s[6:7] offset:24 glc
	s_waitcnt vmcnt(0)
	v_cmp_ne_u64_e32 vcc_lo, v[10:11], v[12:13]
	s_and_b32 exec_lo, exec_lo, vcc_lo
	s_cbranch_execz .LBB6_1748
; %bb.1746:
	s_mov_b32 s5, 0
.LBB6_1747:                             ; =>This Inner Loop Header: Depth=1
	v_mov_b32_e32 v8, s8
	v_mov_b32_e32 v9, s9
	s_sleep 1
	global_store_dwordx2 v[1:2], v[10:11], off
	s_waitcnt_vscnt null, 0x0
	global_atomic_cmpswap_x2 v[8:9], v4, v[8:11], s[6:7] offset:24 glc
	s_waitcnt vmcnt(0)
	v_cmp_eq_u64_e32 vcc_lo, v[8:9], v[10:11]
	v_mov_b32_e32 v11, v9
	v_mov_b32_e32 v10, v8
	s_or_b32 s5, vcc_lo, s5
	s_andn2_b32 exec_lo, exec_lo, s5
	s_cbranch_execnz .LBB6_1747
.LBB6_1748:
	s_or_b32 exec_lo, exec_lo, s10
.LBB6_1749:
	v_readfirstlane_b32 s5, v33
	v_mov_b32_e32 v1, 0
	v_mov_b32_e32 v2, 0
	v_cmp_eq_u32_e64 s5, s5, v33
	s_and_saveexec_b32 s8, s5
	s_cbranch_execz .LBB6_1755
; %bb.1750:
	s_waitcnt vmcnt(0)
	v_mov_b32_e32 v4, 0
	s_mov_b32 s9, exec_lo
	global_load_dwordx2 v[10:11], v4, s[6:7] offset:24 glc dlc
	s_waitcnt vmcnt(0)
	buffer_gl1_inv
	buffer_gl0_inv
	s_clause 0x1
	global_load_dwordx2 v[1:2], v4, s[6:7] offset:40
	global_load_dwordx2 v[8:9], v4, s[6:7]
	s_waitcnt vmcnt(1)
	v_and_b32_e32 v2, v2, v11
	v_and_b32_e32 v1, v1, v10
	v_mul_lo_u32 v2, v2, 24
	v_mul_hi_u32 v5, v1, 24
	v_mul_lo_u32 v1, v1, 24
	v_add_nc_u32_e32 v2, v5, v2
	s_waitcnt vmcnt(0)
	v_add_co_u32 v1, vcc_lo, v8, v1
	v_add_co_ci_u32_e64 v2, null, v9, v2, vcc_lo
	global_load_dwordx2 v[8:9], v[1:2], off glc dlc
	s_waitcnt vmcnt(0)
	global_atomic_cmpswap_x2 v[1:2], v4, v[8:11], s[6:7] offset:24 glc
	s_waitcnt vmcnt(0)
	buffer_gl1_inv
	buffer_gl0_inv
	v_cmpx_ne_u64_e64 v[1:2], v[10:11]
	s_cbranch_execz .LBB6_1754
; %bb.1751:
	s_mov_b32 s10, 0
.LBB6_1752:                             ; =>This Inner Loop Header: Depth=1
	s_sleep 1
	s_clause 0x1
	global_load_dwordx2 v[8:9], v4, s[6:7] offset:40
	global_load_dwordx2 v[12:13], v4, s[6:7]
	v_mov_b32_e32 v11, v2
	v_mov_b32_e32 v10, v1
	s_waitcnt vmcnt(1)
	v_and_b32_e32 v1, v8, v10
	v_and_b32_e32 v5, v9, v11
	s_waitcnt vmcnt(0)
	v_mad_u64_u32 v[1:2], null, v1, 24, v[12:13]
	v_mad_u64_u32 v[8:9], null, v5, 24, v[2:3]
	v_mov_b32_e32 v2, v8
	global_load_dwordx2 v[8:9], v[1:2], off glc dlc
	s_waitcnt vmcnt(0)
	global_atomic_cmpswap_x2 v[1:2], v4, v[8:11], s[6:7] offset:24 glc
	s_waitcnt vmcnt(0)
	buffer_gl1_inv
	buffer_gl0_inv
	v_cmp_eq_u64_e32 vcc_lo, v[1:2], v[10:11]
	s_or_b32 s10, vcc_lo, s10
	s_andn2_b32 exec_lo, exec_lo, s10
	s_cbranch_execnz .LBB6_1752
; %bb.1753:
	s_or_b32 exec_lo, exec_lo, s10
.LBB6_1754:
	s_or_b32 exec_lo, exec_lo, s9
.LBB6_1755:
	s_or_b32 exec_lo, exec_lo, s8
	v_mov_b32_e32 v9, 0
	v_readfirstlane_b32 s9, v2
	v_readfirstlane_b32 s8, v1
	s_mov_b32 s12, exec_lo
	s_clause 0x1
	global_load_dwordx2 v[4:5], v9, s[6:7] offset:40
	global_load_dwordx4 v[10:13], v9, s[6:7]
	s_waitcnt vmcnt(1)
	v_readfirstlane_b32 s10, v4
	v_readfirstlane_b32 s11, v5
	s_and_b64 s[10:11], s[10:11], s[8:9]
	s_mul_i32 s13, s11, 24
	s_mul_hi_u32 s14, s10, 24
	s_mul_i32 s15, s10, 24
	s_add_i32 s14, s14, s13
	s_waitcnt vmcnt(0)
	v_add_co_u32 v1, vcc_lo, v10, s15
	v_add_co_ci_u32_e64 v2, null, s14, v11, vcc_lo
	s_and_saveexec_b32 s13, s5
	s_cbranch_execz .LBB6_1757
; %bb.1756:
	v_mov_b32_e32 v8, s12
	v_mov_b32_e32 v15, v9
	;; [unrolled: 1-line block ×5, first 2 shown]
	global_store_dwordx4 v[1:2], v[14:17], off offset:8
.LBB6_1757:
	s_or_b32 exec_lo, exec_lo, s13
	s_lshl_b64 s[10:11], s[10:11], 12
	s_mov_b32 s12, 0
	v_add_co_u32 v4, vcc_lo, v12, s10
	v_add_co_ci_u32_e64 v5, null, s11, v13, vcc_lo
	s_mov_b32 s15, s12
	v_add_co_u32 v12, vcc_lo, v4, v32
	s_mov_b32 s13, s12
	s_mov_b32 s14, s12
	v_and_or_b32 v6, 0xffffff1f, v6, 32
	v_mov_b32_e32 v8, v34
	v_readfirstlane_b32 s10, v4
	v_readfirstlane_b32 s11, v5
	v_mov_b32_e32 v17, s15
	v_add_co_ci_u32_e64 v13, null, 0, v5, vcc_lo
	v_mov_b32_e32 v16, s14
	v_mov_b32_e32 v15, s13
	;; [unrolled: 1-line block ×3, first 2 shown]
	global_store_dwordx4 v32, v[6:9], s[10:11]
	global_store_dwordx4 v32, v[14:17], s[10:11] offset:16
	global_store_dwordx4 v32, v[14:17], s[10:11] offset:32
	;; [unrolled: 1-line block ×3, first 2 shown]
	s_and_saveexec_b32 s10, s5
	s_cbranch_execz .LBB6_1765
; %bb.1758:
	v_mov_b32_e32 v14, 0
	v_mov_b32_e32 v15, s8
	;; [unrolled: 1-line block ×3, first 2 shown]
	s_clause 0x1
	global_load_dwordx2 v[17:18], v14, s[6:7] offset:32 glc dlc
	global_load_dwordx2 v[4:5], v14, s[6:7] offset:40
	s_waitcnt vmcnt(0)
	v_readfirstlane_b32 s12, v4
	v_readfirstlane_b32 s13, v5
	s_and_b64 s[12:13], s[12:13], s[8:9]
	s_mul_i32 s11, s13, 24
	s_mul_hi_u32 s13, s12, 24
	s_mul_i32 s12, s12, 24
	s_add_i32 s13, s13, s11
	v_add_co_u32 v8, vcc_lo, v10, s12
	v_add_co_ci_u32_e64 v9, null, s13, v11, vcc_lo
	s_mov_b32 s11, exec_lo
	global_store_dwordx2 v[8:9], v[17:18], off
	s_waitcnt_vscnt null, 0x0
	global_atomic_cmpswap_x2 v[6:7], v14, v[15:18], s[6:7] offset:32 glc
	s_waitcnt vmcnt(0)
	v_cmpx_ne_u64_e64 v[6:7], v[17:18]
	s_cbranch_execz .LBB6_1761
; %bb.1759:
	s_mov_b32 s12, 0
.LBB6_1760:                             ; =>This Inner Loop Header: Depth=1
	v_mov_b32_e32 v4, s8
	v_mov_b32_e32 v5, s9
	s_sleep 1
	global_store_dwordx2 v[8:9], v[6:7], off
	s_waitcnt_vscnt null, 0x0
	global_atomic_cmpswap_x2 v[4:5], v14, v[4:7], s[6:7] offset:32 glc
	s_waitcnt vmcnt(0)
	v_cmp_eq_u64_e32 vcc_lo, v[4:5], v[6:7]
	v_mov_b32_e32 v7, v5
	v_mov_b32_e32 v6, v4
	s_or_b32 s12, vcc_lo, s12
	s_andn2_b32 exec_lo, exec_lo, s12
	s_cbranch_execnz .LBB6_1760
.LBB6_1761:
	s_or_b32 exec_lo, exec_lo, s11
	v_mov_b32_e32 v7, 0
	s_mov_b32 s12, exec_lo
	s_mov_b32 s11, exec_lo
	v_mbcnt_lo_u32_b32 v6, s12, 0
	global_load_dwordx2 v[4:5], v7, s[6:7] offset:16
	v_cmpx_eq_u32_e32 0, v6
	s_cbranch_execz .LBB6_1763
; %bb.1762:
	s_bcnt1_i32_b32 s12, s12
	v_mov_b32_e32 v6, s12
	s_waitcnt vmcnt(0)
	global_atomic_add_x2 v[4:5], v[6:7], off offset:8
.LBB6_1763:
	s_or_b32 exec_lo, exec_lo, s11
	s_waitcnt vmcnt(0)
	global_load_dwordx2 v[6:7], v[4:5], off offset:16
	s_waitcnt vmcnt(0)
	v_cmp_eq_u64_e32 vcc_lo, 0, v[6:7]
	s_cbranch_vccnz .LBB6_1765
; %bb.1764:
	global_load_dword v4, v[4:5], off offset:24
	v_mov_b32_e32 v5, 0
	s_waitcnt vmcnt(0)
	v_readfirstlane_b32 s11, v4
	s_waitcnt_vscnt null, 0x0
	global_store_dwordx2 v[6:7], v[4:5], off
	s_and_b32 m0, s11, 0x7fffff
	s_sendmsg sendmsg(MSG_INTERRUPT)
.LBB6_1765:
	s_or_b32 exec_lo, exec_lo, s10
	s_branch .LBB6_1769
.LBB6_1766:                             ;   in Loop: Header=BB6_1769 Depth=1
	s_or_b32 exec_lo, exec_lo, s10
	v_readfirstlane_b32 s10, v4
	s_cmp_eq_u32 s10, 0
	s_cbranch_scc1 .LBB6_1768
; %bb.1767:                             ;   in Loop: Header=BB6_1769 Depth=1
	s_sleep 1
	s_cbranch_execnz .LBB6_1769
	s_branch .LBB6_1771
.LBB6_1768:
	s_branch .LBB6_1771
.LBB6_1769:                             ; =>This Inner Loop Header: Depth=1
	v_mov_b32_e32 v4, 1
	s_and_saveexec_b32 s10, s5
	s_cbranch_execz .LBB6_1766
; %bb.1770:                             ;   in Loop: Header=BB6_1769 Depth=1
	global_load_dword v4, v[1:2], off offset:20 glc dlc
	s_waitcnt vmcnt(0)
	buffer_gl1_inv
	buffer_gl0_inv
	v_and_b32_e32 v4, 1, v4
	s_branch .LBB6_1766
.LBB6_1771:
	global_load_dwordx2 v[1:2], v[12:13], off
	s_and_saveexec_b32 s10, s5
	s_cbranch_execz .LBB6_1775
; %bb.1772:
	v_mov_b32_e32 v10, 0
	s_clause 0x2
	global_load_dwordx2 v[4:5], v10, s[6:7] offset:40
	global_load_dwordx2 v[13:14], v10, s[6:7] offset:24 glc dlc
	global_load_dwordx2 v[6:7], v10, s[6:7]
	s_waitcnt vmcnt(2)
	v_readfirstlane_b32 s12, v4
	v_readfirstlane_b32 s13, v5
	s_add_u32 s5, s12, 1
	s_addc_u32 s11, s13, 0
	s_add_u32 s8, s5, s8
	s_addc_u32 s9, s11, s9
	s_cmp_eq_u64 s[8:9], 0
	s_cselect_b32 s9, s11, s9
	s_cselect_b32 s8, s5, s8
	v_mov_b32_e32 v12, s9
	s_and_b64 s[12:13], s[8:9], s[12:13]
	v_mov_b32_e32 v11, s8
	s_mul_i32 s5, s13, 24
	s_mul_hi_u32 s11, s12, 24
	s_mul_i32 s12, s12, 24
	s_add_i32 s11, s11, s5
	s_waitcnt vmcnt(0)
	v_add_co_u32 v8, vcc_lo, v6, s12
	v_add_co_ci_u32_e64 v9, null, s11, v7, vcc_lo
	global_store_dwordx2 v[8:9], v[13:14], off
	s_waitcnt_vscnt null, 0x0
	global_atomic_cmpswap_x2 v[6:7], v10, v[11:14], s[6:7] offset:24 glc
	s_waitcnt vmcnt(0)
	v_cmp_ne_u64_e32 vcc_lo, v[6:7], v[13:14]
	s_and_b32 exec_lo, exec_lo, vcc_lo
	s_cbranch_execz .LBB6_1775
; %bb.1773:
	s_mov_b32 s5, 0
.LBB6_1774:                             ; =>This Inner Loop Header: Depth=1
	v_mov_b32_e32 v4, s8
	v_mov_b32_e32 v5, s9
	s_sleep 1
	global_store_dwordx2 v[8:9], v[6:7], off
	s_waitcnt_vscnt null, 0x0
	global_atomic_cmpswap_x2 v[4:5], v10, v[4:7], s[6:7] offset:24 glc
	s_waitcnt vmcnt(0)
	v_cmp_eq_u64_e32 vcc_lo, v[4:5], v[6:7]
	v_mov_b32_e32 v7, v5
	v_mov_b32_e32 v6, v4
	s_or_b32 s5, vcc_lo, s5
	s_andn2_b32 exec_lo, exec_lo, s5
	s_cbranch_execnz .LBB6_1774
.LBB6_1775:
	s_or_b32 exec_lo, exec_lo, s10
	v_readfirstlane_b32 s5, v33
	v_mov_b32_e32 v9, 0
	v_mov_b32_e32 v10, 0
	v_cmp_eq_u32_e64 s5, s5, v33
	s_and_saveexec_b32 s8, s5
	s_cbranch_execz .LBB6_1781
; %bb.1776:
	v_mov_b32_e32 v4, 0
	s_mov_b32 s9, exec_lo
	global_load_dwordx2 v[7:8], v4, s[6:7] offset:24 glc dlc
	s_waitcnt vmcnt(0)
	buffer_gl1_inv
	buffer_gl0_inv
	s_clause 0x1
	global_load_dwordx2 v[5:6], v4, s[6:7] offset:40
	global_load_dwordx2 v[9:10], v4, s[6:7]
	s_waitcnt vmcnt(1)
	v_and_b32_e32 v6, v6, v8
	v_and_b32_e32 v5, v5, v7
	v_mul_lo_u32 v6, v6, 24
	v_mul_hi_u32 v11, v5, 24
	v_mul_lo_u32 v5, v5, 24
	v_add_nc_u32_e32 v6, v11, v6
	s_waitcnt vmcnt(0)
	v_add_co_u32 v5, vcc_lo, v9, v5
	v_add_co_ci_u32_e64 v6, null, v10, v6, vcc_lo
	global_load_dwordx2 v[5:6], v[5:6], off glc dlc
	s_waitcnt vmcnt(0)
	global_atomic_cmpswap_x2 v[9:10], v4, v[5:8], s[6:7] offset:24 glc
	s_waitcnt vmcnt(0)
	buffer_gl1_inv
	buffer_gl0_inv
	v_cmpx_ne_u64_e64 v[9:10], v[7:8]
	s_cbranch_execz .LBB6_1780
; %bb.1777:
	s_mov_b32 s10, 0
.LBB6_1778:                             ; =>This Inner Loop Header: Depth=1
	s_sleep 1
	s_clause 0x1
	global_load_dwordx2 v[5:6], v4, s[6:7] offset:40
	global_load_dwordx2 v[11:12], v4, s[6:7]
	v_mov_b32_e32 v7, v9
	v_mov_b32_e32 v8, v10
	s_waitcnt vmcnt(1)
	v_and_b32_e32 v5, v5, v7
	v_and_b32_e32 v6, v6, v8
	s_waitcnt vmcnt(0)
	v_mad_u64_u32 v[9:10], null, v5, 24, v[11:12]
	v_mov_b32_e32 v5, v10
	v_mad_u64_u32 v[5:6], null, v6, 24, v[5:6]
	v_mov_b32_e32 v10, v5
	global_load_dwordx2 v[5:6], v[9:10], off glc dlc
	s_waitcnt vmcnt(0)
	global_atomic_cmpswap_x2 v[9:10], v4, v[5:8], s[6:7] offset:24 glc
	s_waitcnt vmcnt(0)
	buffer_gl1_inv
	buffer_gl0_inv
	v_cmp_eq_u64_e32 vcc_lo, v[9:10], v[7:8]
	s_or_b32 s10, vcc_lo, s10
	s_andn2_b32 exec_lo, exec_lo, s10
	s_cbranch_execnz .LBB6_1778
; %bb.1779:
	s_or_b32 exec_lo, exec_lo, s10
.LBB6_1780:
	s_or_b32 exec_lo, exec_lo, s9
.LBB6_1781:
	s_or_b32 exec_lo, exec_lo, s8
	v_mov_b32_e32 v4, 0
	v_readfirstlane_b32 s9, v10
	v_readfirstlane_b32 s8, v9
	s_mov_b32 s12, exec_lo
	s_clause 0x1
	global_load_dwordx2 v[11:12], v4, s[6:7] offset:40
	global_load_dwordx4 v[5:8], v4, s[6:7]
	s_waitcnt vmcnt(1)
	v_readfirstlane_b32 s10, v11
	v_readfirstlane_b32 s11, v12
	s_and_b64 s[10:11], s[10:11], s[8:9]
	s_mul_i32 s13, s11, 24
	s_mul_hi_u32 s14, s10, 24
	s_mul_i32 s15, s10, 24
	s_add_i32 s14, s14, s13
	s_waitcnt vmcnt(0)
	v_add_co_u32 v9, vcc_lo, v5, s15
	v_add_co_ci_u32_e64 v10, null, s14, v6, vcc_lo
	s_and_saveexec_b32 s13, s5
	s_cbranch_execz .LBB6_1783
; %bb.1782:
	v_mov_b32_e32 v11, s12
	v_mov_b32_e32 v12, v4
	;; [unrolled: 1-line block ×4, first 2 shown]
	global_store_dwordx4 v[9:10], v[11:14], off offset:8
.LBB6_1783:
	s_or_b32 exec_lo, exec_lo, s13
	s_lshl_b64 s[10:11], s[10:11], 12
	s_mov_b32 s12, 0
	v_add_co_u32 v7, vcc_lo, v7, s10
	v_add_co_ci_u32_e64 v8, null, s11, v8, vcc_lo
	s_mov_b32 s13, s12
	s_mov_b32 s14, s12
	;; [unrolled: 1-line block ×3, first 2 shown]
	v_and_or_b32 v1, 0xffffff1d, v1, 34
	v_readfirstlane_b32 s10, v7
	v_readfirstlane_b32 s11, v8
	v_mov_b32_e32 v11, s12
	v_mov_b32_e32 v12, s13
	;; [unrolled: 1-line block ×4, first 2 shown]
	global_store_dwordx4 v32, v[1:4], s[10:11]
	global_store_dwordx4 v32, v[11:14], s[10:11] offset:16
	global_store_dwordx4 v32, v[11:14], s[10:11] offset:32
	;; [unrolled: 1-line block ×3, first 2 shown]
	s_and_saveexec_b32 s10, s5
	s_cbranch_execz .LBB6_1791
; %bb.1784:
	v_mov_b32_e32 v7, 0
	v_mov_b32_e32 v11, s8
	;; [unrolled: 1-line block ×3, first 2 shown]
	s_clause 0x1
	global_load_dwordx2 v[13:14], v7, s[6:7] offset:32 glc dlc
	global_load_dwordx2 v[1:2], v7, s[6:7] offset:40
	s_waitcnt vmcnt(0)
	v_readfirstlane_b32 s12, v1
	v_readfirstlane_b32 s13, v2
	s_and_b64 s[12:13], s[12:13], s[8:9]
	s_mul_i32 s11, s13, 24
	s_mul_hi_u32 s13, s12, 24
	s_mul_i32 s12, s12, 24
	s_add_i32 s13, s13, s11
	v_add_co_u32 v5, vcc_lo, v5, s12
	v_add_co_ci_u32_e64 v6, null, s13, v6, vcc_lo
	s_mov_b32 s11, exec_lo
	global_store_dwordx2 v[5:6], v[13:14], off
	s_waitcnt_vscnt null, 0x0
	global_atomic_cmpswap_x2 v[3:4], v7, v[11:14], s[6:7] offset:32 glc
	s_waitcnt vmcnt(0)
	v_cmpx_ne_u64_e64 v[3:4], v[13:14]
	s_cbranch_execz .LBB6_1787
; %bb.1785:
	s_mov_b32 s12, 0
.LBB6_1786:                             ; =>This Inner Loop Header: Depth=1
	v_mov_b32_e32 v1, s8
	v_mov_b32_e32 v2, s9
	s_sleep 1
	global_store_dwordx2 v[5:6], v[3:4], off
	s_waitcnt_vscnt null, 0x0
	global_atomic_cmpswap_x2 v[1:2], v7, v[1:4], s[6:7] offset:32 glc
	s_waitcnt vmcnt(0)
	v_cmp_eq_u64_e32 vcc_lo, v[1:2], v[3:4]
	v_mov_b32_e32 v4, v2
	v_mov_b32_e32 v3, v1
	s_or_b32 s12, vcc_lo, s12
	s_andn2_b32 exec_lo, exec_lo, s12
	s_cbranch_execnz .LBB6_1786
.LBB6_1787:
	s_or_b32 exec_lo, exec_lo, s11
	v_mov_b32_e32 v4, 0
	s_mov_b32 s12, exec_lo
	s_mov_b32 s11, exec_lo
	v_mbcnt_lo_u32_b32 v3, s12, 0
	global_load_dwordx2 v[1:2], v4, s[6:7] offset:16
	v_cmpx_eq_u32_e32 0, v3
	s_cbranch_execz .LBB6_1789
; %bb.1788:
	s_bcnt1_i32_b32 s12, s12
	v_mov_b32_e32 v3, s12
	s_waitcnt vmcnt(0)
	global_atomic_add_x2 v[1:2], v[3:4], off offset:8
.LBB6_1789:
	s_or_b32 exec_lo, exec_lo, s11
	s_waitcnt vmcnt(0)
	global_load_dwordx2 v[3:4], v[1:2], off offset:16
	s_waitcnt vmcnt(0)
	v_cmp_eq_u64_e32 vcc_lo, 0, v[3:4]
	s_cbranch_vccnz .LBB6_1791
; %bb.1790:
	global_load_dword v1, v[1:2], off offset:24
	v_mov_b32_e32 v2, 0
	s_waitcnt vmcnt(0)
	v_readfirstlane_b32 s11, v1
	s_waitcnt_vscnt null, 0x0
	global_store_dwordx2 v[3:4], v[1:2], off
	s_and_b32 m0, s11, 0x7fffff
	s_sendmsg sendmsg(MSG_INTERRUPT)
.LBB6_1791:
	s_or_b32 exec_lo, exec_lo, s10
	s_branch .LBB6_1795
.LBB6_1792:                             ;   in Loop: Header=BB6_1795 Depth=1
	s_or_b32 exec_lo, exec_lo, s10
	v_readfirstlane_b32 s10, v1
	s_cmp_eq_u32 s10, 0
	s_cbranch_scc1 .LBB6_1794
; %bb.1793:                             ;   in Loop: Header=BB6_1795 Depth=1
	s_sleep 1
	s_cbranch_execnz .LBB6_1795
	s_branch .LBB6_1797
.LBB6_1794:
	s_branch .LBB6_1797
.LBB6_1795:                             ; =>This Inner Loop Header: Depth=1
	v_mov_b32_e32 v1, 1
	s_and_saveexec_b32 s10, s5
	s_cbranch_execz .LBB6_1792
; %bb.1796:                             ;   in Loop: Header=BB6_1795 Depth=1
	global_load_dword v1, v[9:10], off offset:20 glc dlc
	s_waitcnt vmcnt(0)
	buffer_gl1_inv
	buffer_gl0_inv
	v_and_b32_e32 v1, 1, v1
	s_branch .LBB6_1792
.LBB6_1797:
	s_and_b32 exec_lo, exec_lo, s5
	s_cbranch_execz .LBB6_1801
; %bb.1798:
	v_mov_b32_e32 v7, 0
	s_clause 0x2
	global_load_dwordx2 v[1:2], v7, s[6:7] offset:40
	global_load_dwordx2 v[10:11], v7, s[6:7] offset:24 glc dlc
	global_load_dwordx2 v[3:4], v7, s[6:7]
	s_waitcnt vmcnt(2)
	v_readfirstlane_b32 s10, v1
	v_readfirstlane_b32 s11, v2
	s_add_u32 s5, s10, 1
	s_addc_u32 s12, s11, 0
	s_add_u32 s8, s5, s8
	s_addc_u32 s9, s12, s9
	s_cmp_eq_u64 s[8:9], 0
	s_cselect_b32 s9, s12, s9
	s_cselect_b32 s8, s5, s8
	v_mov_b32_e32 v9, s9
	s_and_b64 s[10:11], s[8:9], s[10:11]
	v_mov_b32_e32 v8, s8
	s_mul_i32 s5, s11, 24
	s_mul_hi_u32 s11, s10, 24
	s_mul_i32 s10, s10, 24
	s_add_i32 s11, s11, s5
	s_waitcnt vmcnt(0)
	v_add_co_u32 v5, vcc_lo, v3, s10
	v_add_co_ci_u32_e64 v6, null, s11, v4, vcc_lo
	global_store_dwordx2 v[5:6], v[10:11], off
	s_waitcnt_vscnt null, 0x0
	global_atomic_cmpswap_x2 v[3:4], v7, v[8:11], s[6:7] offset:24 glc
	s_waitcnt vmcnt(0)
	v_cmp_ne_u64_e32 vcc_lo, v[3:4], v[10:11]
	s_and_b32 exec_lo, exec_lo, vcc_lo
	s_cbranch_execz .LBB6_1801
; %bb.1799:
	s_mov_b32 s5, 0
.LBB6_1800:                             ; =>This Inner Loop Header: Depth=1
	v_mov_b32_e32 v1, s8
	v_mov_b32_e32 v2, s9
	s_sleep 1
	global_store_dwordx2 v[5:6], v[3:4], off
	s_waitcnt_vscnt null, 0x0
	global_atomic_cmpswap_x2 v[1:2], v7, v[1:4], s[6:7] offset:24 glc
	s_waitcnt vmcnt(0)
	v_cmp_eq_u64_e32 vcc_lo, v[1:2], v[3:4]
	v_mov_b32_e32 v4, v2
	v_mov_b32_e32 v3, v1
	s_or_b32 s5, vcc_lo, s5
	s_andn2_b32 exec_lo, exec_lo, s5
	s_cbranch_execnz .LBB6_1800
.LBB6_1801:
	s_or_b32 exec_lo, exec_lo, s20
	v_or_b32_e32 v0, v0, v41
	s_xor_b32 s4, s4, -1
	s_mov_b32 s23, 0
                                        ; implicit-def: $vgpr41
	v_cmp_lt_i32_e32 vcc_lo, -1, v0
	s_and_b32 s4, vcc_lo, s4
	s_and_saveexec_b32 s5, s4
	s_xor_b32 s4, exec_lo, s5
	s_cbranch_execz .LBB6_1803
; %bb.1802:
	flat_load_dword v0, v[42:43]
	v_lshl_or_b32 v29, v31, 1, 1
	s_mov_b32 s23, exec_lo
	s_waitcnt vmcnt(0) lgkmcnt(0)
	v_ashrrev_i32_e32 v1, 31, v0
	v_add_nc_u32_e32 v3, 1, v0
	v_lshl_or_b32 v41, v0, 1, 1
	v_lshlrev_b64 v[1:2], 3, v[0:1]
	v_add_co_u32 v1, vcc_lo, v42, v1
	v_add_co_ci_u32_e64 v2, null, v43, v2, vcc_lo
	flat_store_dword v[42:43], v3
	flat_store_dwordx2 v[1:2], v[29:30] offset:8
.LBB6_1803:
	s_or_saveexec_b32 s24, s4
	s_mov_b32 s4, s21
	s_xor_b32 exec_lo, exec_lo, s24
	s_cbranch_execz .LBB6_1805
; %bb.1804:
	s_getpc_b64 s[4:5]
	s_add_u32 s4, s4, .str.46@rel32@lo+4
	s_addc_u32 s5, s5, .str.46@rel32@hi+12
	s_getpc_b64 s[6:7]
	s_add_u32 s6, s6, .str.44@rel32@lo+4
	s_addc_u32 s7, s7, .str.44@rel32@hi+12
	s_getpc_b64 s[8:9]
	s_add_u32 s8, s8, __PRETTY_FUNCTION__._ZN8subgUtil18formAndNodeKeyFlagEiii@rel32@lo+4
	s_addc_u32 s9, s9, __PRETTY_FUNCTION__._ZN8subgUtil18formAndNodeKeyFlagEiii@rel32@hi+12
	v_mov_b32_e32 v0, s4
	v_mov_b32_e32 v1, s5
	v_mov_b32_e32 v2, s6
	v_mov_b32_e32 v3, s7
	v_mov_b32_e32 v4, 35
	v_mov_b32_e32 v5, s8
	v_mov_b32_e32 v6, s9
	s_getpc_b64 s[10:11]
	s_add_u32 s10, s10, __assert_fail@rel32@lo+4
	s_addc_u32 s11, s11, __assert_fail@rel32@hi+12
	s_mov_b64 s[8:9], s[52:53]
	s_swappc_b64 s[30:31], s[10:11]
	s_or_b32 s4, s21, exec_lo
.LBB6_1805:
	s_or_b32 exec_lo, exec_lo, s24
	s_andn2_b32 s5, s21, exec_lo
	s_and_b32 s4, s4, exec_lo
	s_or_b32 s21, s5, s4
	s_and_b32 s5, s23, exec_lo
.LBB6_1806:
	s_or_b32 exec_lo, exec_lo, s22
	s_andn2_b32 s4, s34, exec_lo
	s_and_b32 s6, s21, exec_lo
	s_orn2_b32 s5, s5, exec_lo
	s_or_b32 s4, s4, s6
.LBB6_1807:
	s_or_b32 exec_lo, exec_lo, s37
	s_and_b32 s7, s4, exec_lo
	v_readlane_b32 s4, v59, 7
	s_andn2_b32 s6, s34, exec_lo
	s_and_b32 s5, s5, exec_lo
	s_or_b32 s22, s6, s7
	s_andn2_b32 s4, s4, exec_lo
	s_or_b32 s21, s4, s5
.LBB6_1808:
	s_andn2_saveexec_b32 s23, s36
	s_cbranch_execz .LBB6_1810
; %bb.1809:
	s_getpc_b64 s[4:5]
	s_add_u32 s4, s4, .str.46@rel32@lo+4
	s_addc_u32 s5, s5, .str.46@rel32@hi+12
	s_getpc_b64 s[6:7]
	s_add_u32 s6, s6, .str.44@rel32@lo+4
	s_addc_u32 s7, s7, .str.44@rel32@hi+12
	s_getpc_b64 s[8:9]
	s_add_u32 s8, s8, __PRETTY_FUNCTION__._ZN8subgUtil18formAndNodeKeyFlagEiii@rel32@lo+4
	s_addc_u32 s9, s9, __PRETTY_FUNCTION__._ZN8subgUtil18formAndNodeKeyFlagEiii@rel32@hi+12
	v_mov_b32_e32 v0, s4
	v_mov_b32_e32 v1, s5
	;; [unrolled: 1-line block ×7, first 2 shown]
	s_getpc_b64 s[10:11]
	s_add_u32 s10, s10, __assert_fail@rel32@lo+4
	s_addc_u32 s11, s11, __assert_fail@rel32@hi+12
	s_mov_b64 s[8:9], s[52:53]
	s_swappc_b64 s[30:31], s[10:11]
	s_or_b32 s22, s22, exec_lo
.LBB6_1810:
	s_or_b32 exec_lo, exec_lo, s23
	v_readlane_b32 s36, v59, 7
	s_andn2_b32 s4, s34, exec_lo
	v_readlane_b32 s34, v59, 5
	s_and_b32 s5, s22, exec_lo
	s_and_b32 s7, s21, exec_lo
	s_andn2_b32 s6, s36, exec_lo
	s_or_b32 s4, s4, s5
	s_or_b32 s5, s6, s7
.LBB6_1811:
	s_or_b32 exec_lo, exec_lo, s35
	s_andn2_b32 s6, s34, exec_lo
	s_and_b32 s4, s4, exec_lo
	s_andn2_b32 s7, s36, exec_lo
	s_and_b32 s5, s5, exec_lo
	s_or_b32 s34, s6, s4
	s_or_b32 s36, s7, s5
	s_mov_b32 s42, s49
	s_mov_b32 s24, s67
	v_readlane_b32 s25, v59, 9
	v_readlane_b32 s26, v59, 8
	s_mov_b32 s22, s68
	v_readlane_b32 s29, v59, 6
	s_mov_b32 s40, s69
	;; [unrolled: 2-line block ×3, first 2 shown]
	s_mov_b32 s43, 0
	v_readlane_b32 s44, v59, 14
	v_readlane_b32 s45, v59, 2
	;; [unrolled: 1-line block ×11, first 2 shown]
.LBB6_1812:
	s_or_b32 exec_lo, exec_lo, s4
	s_andn2_b32 s4, s5, exec_lo
	s_and_b32 s5, s34, exec_lo
	s_and_b32 s6, s36, exec_lo
	s_or_b32 s5, s4, s5
	v_readlane_b32 s4, v59, 1
.LBB6_1813:
	s_or_b32 exec_lo, exec_lo, s4
	s_andn2_b32 s4, s28, exec_lo
	s_and_b32 s5, s5, exec_lo
	s_or_b32 s28, s4, s5
	s_and_b32 s4, s6, exec_lo
.LBB6_1814:
	s_or_b32 exec_lo, exec_lo, s57
	s_andn2_b32 s5, s27, exec_lo
	s_and_b32 s6, s28, exec_lo
	s_or_b32 s27, s5, s6
	s_and_b32 s5, s4, exec_lo
.LBB6_1815:
	s_or_b32 exec_lo, exec_lo, s56
	s_andn2_b32 s4, s21, exec_lo
	s_and_b32 s6, s27, exec_lo
	s_and_b32 s27, s5, exec_lo
	s_or_b32 s28, s4, s6
.LBB6_1816:
	s_andn2_saveexec_b32 s47, s47
	s_cbranch_execz .LBB6_1818
; %bb.1817:
	s_getpc_b64 s[4:5]
	s_add_u32 s4, s4, .str.39@rel32@lo+4
	s_addc_u32 s5, s5, .str.39@rel32@hi+12
	s_getpc_b64 s[6:7]
	s_add_u32 s6, s6, .str.31@rel32@lo+4
	s_addc_u32 s7, s7, .str.31@rel32@hi+12
	s_getpc_b64 s[8:9]
	s_add_u32 s8, s8, __PRETTY_FUNCTION__._ZN3sop17sopDivideInternalEPNS_3SopES1_S1_S1_P7VecsMemIjLi8192EE@rel32@lo+4
	s_addc_u32 s9, s9, __PRETTY_FUNCTION__._ZN3sop17sopDivideInternalEPNS_3SopES1_S1_S1_P7VecsMemIjLi8192EE@rel32@hi+12
	v_mov_b32_e32 v0, s4
	v_mov_b32_e32 v1, s5
	;; [unrolled: 1-line block ×7, first 2 shown]
	s_getpc_b64 s[10:11]
	s_add_u32 s10, s10, __assert_fail@rel32@lo+4
	s_addc_u32 s11, s11, __assert_fail@rel32@hi+12
	s_mov_b64 s[8:9], s[52:53]
	s_swappc_b64 s[30:31], s[10:11]
	s_or_b32 s28, s28, exec_lo
.LBB6_1818:
	s_or_b32 exec_lo, exec_lo, s47
	s_andn2_b32 s4, s21, exec_lo
	s_and_b32 s5, s28, exec_lo
	s_or_b32 s21, s4, s5
	s_and_b32 s5, s27, exec_lo
.LBB6_1819:
	s_or_b32 exec_lo, exec_lo, s46
	s_andn2_b32 s4, s23, exec_lo
	s_and_b32 s6, s21, exec_lo
	s_and_b32 s21, s5, exec_lo
	s_or_b32 s27, s4, s6
.LBB6_1820:
	s_andn2_saveexec_b32 s28, s45
	s_cbranch_execz .LBB6_1822
; %bb.1821:
	s_getpc_b64 s[4:5]
	s_add_u32 s4, s4, .str.38@rel32@lo+4
	s_addc_u32 s5, s5, .str.38@rel32@hi+12
	s_getpc_b64 s[6:7]
	s_add_u32 s6, s6, .str.31@rel32@lo+4
	s_addc_u32 s7, s7, .str.31@rel32@hi+12
	s_getpc_b64 s[8:9]
	s_add_u32 s8, s8, __PRETTY_FUNCTION__._ZN3sop17sopDivideInternalEPNS_3SopES1_S1_S1_P7VecsMemIjLi8192EE@rel32@lo+4
	s_addc_u32 s9, s9, __PRETTY_FUNCTION__._ZN3sop17sopDivideInternalEPNS_3SopES1_S1_S1_P7VecsMemIjLi8192EE@rel32@hi+12
	v_mov_b32_e32 v0, s4
	v_mov_b32_e32 v1, s5
	;; [unrolled: 1-line block ×7, first 2 shown]
	s_getpc_b64 s[10:11]
	s_add_u32 s10, s10, __assert_fail@rel32@lo+4
	s_addc_u32 s11, s11, __assert_fail@rel32@hi+12
	s_mov_b64 s[8:9], s[52:53]
	s_swappc_b64 s[30:31], s[10:11]
	s_or_b32 s27, s27, exec_lo
.LBB6_1822:
	s_or_b32 exec_lo, exec_lo, s28
	s_andn2_b32 s4, s23, exec_lo
	s_and_b32 s5, s27, exec_lo
	s_and_b32 s28, s21, exec_lo
	s_or_b32 s27, s4, s5
                                        ; implicit-def: $vgpr64_vgpr65
                                        ; implicit-def: $vgpr56
                                        ; implicit-def: $vgpr54_vgpr55
                                        ; implicit-def: $vgpr44_vgpr45
                                        ; implicit-def: $vgpr42_vgpr43
                                        ; implicit-def: $vgpr47
                                        ; implicit-def: $vgpr52_vgpr53
.LBB6_1823:
	s_or_saveexec_b32 s44, s44
	s_mov_b32 s45, 0
	s_xor_b32 exec_lo, exec_lo, s44
	s_cbranch_execz .LBB6_2354
; %bb.1824:
	v_mov_b32_e32 v2, -1
	s_and_saveexec_b32 s6, s42
	s_cbranch_execz .LBB6_1834
; %bb.1825:
	flat_load_dword v2, v[64:65]
	v_mov_b32_e32 v3, -1
	v_mov_b32_e32 v4, -1
	s_mov_b32 s7, 0
	s_mov_b32 s8, 0
	s_waitcnt vmcnt(1) lgkmcnt(0)
	v_cmp_lt_i32_e32 vcc_lo, 0, v56
	s_inst_prefetch 0x1
	s_branch .LBB6_1828
.LBB6_1826:                             ;   in Loop: Header=BB6_1828 Depth=1
	s_or_b32 exec_lo, exec_lo, s10
	v_cmp_lt_u32_e64 s4, 1, v5
	v_cmp_lt_i32_e64 s5, v3, v5
	s_and_b32 s4, s4, s5
	v_cndmask_b32_e64 v4, v4, s8, s4
	v_cndmask_b32_e64 v3, v3, v5, s4
.LBB6_1827:                             ;   in Loop: Header=BB6_1828 Depth=1
	s_or_b32 exec_lo, exec_lo, s9
	s_add_i32 s8, s8, 1
	v_cmp_eq_u32_e64 s4, s8, v47
	s_or_b32 s7, s4, s7
	s_andn2_b32 exec_lo, exec_lo, s7
	s_cbranch_execz .LBB6_1833
.LBB6_1828:                             ; =>This Loop Header: Depth=1
                                        ;     Child Loop BB6_1831 Depth 2
	s_waitcnt vmcnt(0)
	v_lshrrev_b32_e32 v0, s8, v2
	s_mov_b32 s9, exec_lo
	v_and_b32_e32 v0, 1, v0
	v_cmpx_eq_u32_e32 1, v0
	s_cbranch_execz .LBB6_1827
; %bb.1829:                             ;   in Loop: Header=BB6_1828 Depth=1
	v_mov_b32_e32 v5, 0
	s_and_saveexec_b32 s10, vcc_lo
	s_cbranch_execz .LBB6_1826
; %bb.1830:                             ;   in Loop: Header=BB6_1828 Depth=1
	v_mov_b32_e32 v0, v54
	v_mov_b32_e32 v5, 0
	;; [unrolled: 1-line block ×4, first 2 shown]
	s_mov_b32 s11, 0
.LBB6_1831:                             ;   Parent Loop BB6_1828 Depth=1
                                        ; =>  This Inner Loop Header: Depth=2
	flat_load_dword v7, v[0:1]
	v_add_nc_u32_e32 v6, -1, v6
	v_add_co_u32 v0, s4, v0, 4
	v_add_co_ci_u32_e64 v1, null, 0, v1, s4
	v_cmp_eq_u32_e64 s5, 0, v6
	s_or_b32 s11, s5, s11
	s_waitcnt vmcnt(0) lgkmcnt(0)
	v_bfe_u32 v7, v7, s8, 1
	v_add_nc_u32_e32 v5, v7, v5
	s_andn2_b32 exec_lo, exec_lo, s11
	s_cbranch_execnz .LBB6_1831
; %bb.1832:                             ;   in Loop: Header=BB6_1828 Depth=1
	s_or_b32 exec_lo, exec_lo, s11
	s_branch .LBB6_1826
.LBB6_1833:
	s_inst_prefetch 0x2
	s_or_b32 exec_lo, exec_lo, s7
	v_cmp_lt_i32_e32 vcc_lo, -1, v3
	v_cndmask_b32_e32 v2, -1, v4, vcc_lo
.LBB6_1834:
	s_or_b32 exec_lo, exec_lo, s6
	flat_load_dword v0, v[44:45]
	s_mov_b32 s4, 0
	s_mov_b32 s5, -1
	s_mov_b32 s6, s28
	s_mov_b32 s7, s27
	s_mov_b32 s49, exec_lo
                                        ; implicit-def: $vgpr41
	s_waitcnt vmcnt(0) lgkmcnt(0)
	v_cmpx_gt_i32_e32 0x2000, v0
	s_cbranch_execz .LBB6_2353
; %bb.1835:
	v_ashrrev_i32_e32 v1, 31, v0
	v_lshlrev_b32_e64 v71, v2, 1
	v_mov_b32_e32 v66, 0
	v_mov_b32_e32 v67, 0
	s_mov_b32 s67, s27
	v_lshlrev_b64 v[3:4], 2, v[0:1]
	v_add_nc_u32_e32 v0, 1, v0
	v_add_co_u32 v64, vcc_lo, v44, v3
	v_add_co_ci_u32_e64 v65, null, v45, v4, vcc_lo
	flat_store_dword v[44:45], v0
	flat_store_dword v[64:65], v71 offset:4
	flat_load_dword v68, v[52:53] offset:4
	v_mov_b32_e32 v0, 0
	buffer_store_dword v0, off, s[0:3], s33 offset:76
	s_waitcnt vmcnt(0) lgkmcnt(0)
	v_cmp_lt_i32_e64 s21, 0, v68
	s_and_saveexec_b32 s42, s21
	s_cbranch_execz .LBB6_1982
; %bb.1836:
	flat_load_dword v0, v[44:45]
	v_mov_b32_e32 v66, 0
	v_mov_b32_e32 v67, 0
	s_mov_b32 s43, 0
	s_mov_b32 s4, exec_lo
	s_waitcnt vmcnt(0) lgkmcnt(0)
	v_add_nc_u32_e32 v0, v0, v68
	v_cmpx_gt_i32_e32 0x2001, v0
	s_xor_b32 s4, exec_lo, s4
	s_cbranch_execz .LBB6_1838
; %bb.1837:
	v_ashrrev_i32_e32 v1, 31, v0
	v_mov_b32_e32 v69, 0
	s_mov_b32 s43, exec_lo
	flat_store_dword v[44:45], v0
	v_lshlrev_b64 v[1:2], 2, v[0:1]
	v_lshlrev_b64 v[3:4], 2, v[68:69]
	v_add_co_u32 v1, vcc_lo, v44, v1
	v_add_co_ci_u32_e64 v2, null, v45, v2, vcc_lo
	v_sub_co_u32 v1, vcc_lo, v1, v3
	v_sub_co_ci_u32_e64 v2, null, v2, v4, vcc_lo
	v_add_co_u32 v66, vcc_lo, v1, 4
	v_add_co_ci_u32_e64 v67, null, 0, v2, vcc_lo
.LBB6_1838:
	s_or_saveexec_b32 s45, s4
	s_mov_b32 s4, s27
	s_xor_b32 exec_lo, exec_lo, s45
	s_cbranch_execz .LBB6_1981
; %bb.1839:
	s_load_dwordx2 s[6:7], s[52:53], 0x50
	v_mbcnt_lo_u32_b32 v29, -1, 0
	v_mov_b32_e32 v6, 0
	v_mov_b32_e32 v7, 0
	v_readfirstlane_b32 s4, v29
	v_cmp_eq_u32_e64 s4, s4, v29
	s_and_saveexec_b32 s5, s4
	s_cbranch_execz .LBB6_1845
; %bb.1840:
	v_mov_b32_e32 v0, 0
	s_mov_b32 s8, exec_lo
	s_waitcnt lgkmcnt(0)
	global_load_dwordx2 v[3:4], v0, s[6:7] offset:24 glc dlc
	s_waitcnt vmcnt(0)
	buffer_gl1_inv
	buffer_gl0_inv
	s_clause 0x1
	global_load_dwordx2 v[1:2], v0, s[6:7] offset:40
	global_load_dwordx2 v[5:6], v0, s[6:7]
	s_waitcnt vmcnt(1)
	v_and_b32_e32 v2, v2, v4
	v_and_b32_e32 v1, v1, v3
	v_mul_lo_u32 v2, v2, 24
	v_mul_hi_u32 v7, v1, 24
	v_mul_lo_u32 v1, v1, 24
	v_add_nc_u32_e32 v2, v7, v2
	s_waitcnt vmcnt(0)
	v_add_co_u32 v1, vcc_lo, v5, v1
	v_add_co_ci_u32_e64 v2, null, v6, v2, vcc_lo
	global_load_dwordx2 v[1:2], v[1:2], off glc dlc
	s_waitcnt vmcnt(0)
	global_atomic_cmpswap_x2 v[6:7], v0, v[1:4], s[6:7] offset:24 glc
	s_waitcnt vmcnt(0)
	buffer_gl1_inv
	buffer_gl0_inv
	v_cmpx_ne_u64_e64 v[6:7], v[3:4]
	s_cbranch_execz .LBB6_1844
; %bb.1841:
	s_mov_b32 s9, 0
.LBB6_1842:                             ; =>This Inner Loop Header: Depth=1
	s_sleep 1
	s_clause 0x1
	global_load_dwordx2 v[1:2], v0, s[6:7] offset:40
	global_load_dwordx2 v[8:9], v0, s[6:7]
	v_mov_b32_e32 v3, v6
	v_mov_b32_e32 v4, v7
	s_waitcnt vmcnt(1)
	v_and_b32_e32 v1, v1, v3
	v_and_b32_e32 v2, v2, v4
	s_waitcnt vmcnt(0)
	v_mad_u64_u32 v[5:6], null, v1, 24, v[8:9]
	v_mov_b32_e32 v1, v6
	v_mad_u64_u32 v[1:2], null, v2, 24, v[1:2]
	v_mov_b32_e32 v6, v1
	global_load_dwordx2 v[1:2], v[5:6], off glc dlc
	s_waitcnt vmcnt(0)
	global_atomic_cmpswap_x2 v[6:7], v0, v[1:4], s[6:7] offset:24 glc
	s_waitcnt vmcnt(0)
	buffer_gl1_inv
	buffer_gl0_inv
	v_cmp_eq_u64_e32 vcc_lo, v[6:7], v[3:4]
	s_or_b32 s9, vcc_lo, s9
	s_andn2_b32 exec_lo, exec_lo, s9
	s_cbranch_execnz .LBB6_1842
; %bb.1843:
	s_or_b32 exec_lo, exec_lo, s9
.LBB6_1844:
	s_or_b32 exec_lo, exec_lo, s8
.LBB6_1845:
	s_or_b32 exec_lo, exec_lo, s5
	v_mov_b32_e32 v5, 0
	v_readfirstlane_b32 s9, v7
	v_readfirstlane_b32 s8, v6
	s_mov_b32 s5, exec_lo
	s_waitcnt lgkmcnt(0)
	s_clause 0x1
	global_load_dwordx2 v[8:9], v5, s[6:7] offset:40
	global_load_dwordx4 v[0:3], v5, s[6:7]
	s_waitcnt vmcnt(1)
	v_readfirstlane_b32 s10, v8
	v_readfirstlane_b32 s11, v9
	s_and_b64 s[10:11], s[10:11], s[8:9]
	s_mul_i32 s12, s11, 24
	s_mul_hi_u32 s13, s10, 24
	s_mul_i32 s14, s10, 24
	s_add_i32 s13, s13, s12
	s_waitcnt vmcnt(0)
	v_add_co_u32 v8, vcc_lo, v0, s14
	v_add_co_ci_u32_e64 v9, null, s13, v1, vcc_lo
	s_and_saveexec_b32 s12, s4
	s_cbranch_execz .LBB6_1847
; %bb.1846:
	v_mov_b32_e32 v4, s5
	v_mov_b32_e32 v6, 2
	;; [unrolled: 1-line block ×3, first 2 shown]
	global_store_dwordx4 v[8:9], v[4:7], off offset:8
.LBB6_1847:
	s_or_b32 exec_lo, exec_lo, s12
	s_lshl_b64 s[10:11], s[10:11], 12
	v_lshlrev_b32_e32 v28, 6, v29
	v_add_co_u32 v2, vcc_lo, v2, s10
	v_add_co_ci_u32_e64 v3, null, s11, v3, vcc_lo
	s_mov_b32 s12, 0
	v_add_co_u32 v10, vcc_lo, v2, v28
	s_mov_b32 s13, s12
	s_mov_b32 s14, s12
	;; [unrolled: 1-line block ×3, first 2 shown]
	v_mov_b32_e32 v4, 33
	v_mov_b32_e32 v6, v5
	;; [unrolled: 1-line block ×3, first 2 shown]
	v_readfirstlane_b32 s10, v2
	v_readfirstlane_b32 s11, v3
	v_mov_b32_e32 v12, s12
	v_add_co_ci_u32_e64 v11, null, 0, v3, vcc_lo
	v_mov_b32_e32 v13, s13
	v_mov_b32_e32 v14, s14
	;; [unrolled: 1-line block ×3, first 2 shown]
	global_store_dwordx4 v28, v[4:7], s[10:11]
	global_store_dwordx4 v28, v[12:15], s[10:11] offset:16
	global_store_dwordx4 v28, v[12:15], s[10:11] offset:32
	;; [unrolled: 1-line block ×3, first 2 shown]
	s_and_saveexec_b32 s5, s4
	s_cbranch_execz .LBB6_1855
; %bb.1848:
	v_mov_b32_e32 v6, 0
	v_mov_b32_e32 v12, s8
	;; [unrolled: 1-line block ×3, first 2 shown]
	s_mov_b32 s10, exec_lo
	s_clause 0x1
	global_load_dwordx2 v[14:15], v6, s[6:7] offset:32 glc dlc
	global_load_dwordx2 v[2:3], v6, s[6:7] offset:40
	s_waitcnt vmcnt(0)
	v_and_b32_e32 v3, s9, v3
	v_and_b32_e32 v2, s8, v2
	v_mul_lo_u32 v3, v3, 24
	v_mul_hi_u32 v4, v2, 24
	v_mul_lo_u32 v2, v2, 24
	v_add_nc_u32_e32 v3, v4, v3
	v_add_co_u32 v4, vcc_lo, v0, v2
	v_add_co_ci_u32_e64 v5, null, v1, v3, vcc_lo
	global_store_dwordx2 v[4:5], v[14:15], off
	s_waitcnt_vscnt null, 0x0
	global_atomic_cmpswap_x2 v[2:3], v6, v[12:15], s[6:7] offset:32 glc
	s_waitcnt vmcnt(0)
	v_cmpx_ne_u64_e64 v[2:3], v[14:15]
	s_cbranch_execz .LBB6_1851
; %bb.1849:
	s_mov_b32 s11, 0
.LBB6_1850:                             ; =>This Inner Loop Header: Depth=1
	v_mov_b32_e32 v0, s8
	v_mov_b32_e32 v1, s9
	s_sleep 1
	global_store_dwordx2 v[4:5], v[2:3], off
	s_waitcnt_vscnt null, 0x0
	global_atomic_cmpswap_x2 v[0:1], v6, v[0:3], s[6:7] offset:32 glc
	s_waitcnt vmcnt(0)
	v_cmp_eq_u64_e32 vcc_lo, v[0:1], v[2:3]
	v_mov_b32_e32 v3, v1
	v_mov_b32_e32 v2, v0
	s_or_b32 s11, vcc_lo, s11
	s_andn2_b32 exec_lo, exec_lo, s11
	s_cbranch_execnz .LBB6_1850
.LBB6_1851:
	s_or_b32 exec_lo, exec_lo, s10
	v_mov_b32_e32 v3, 0
	s_mov_b32 s11, exec_lo
	s_mov_b32 s10, exec_lo
	v_mbcnt_lo_u32_b32 v2, s11, 0
	global_load_dwordx2 v[0:1], v3, s[6:7] offset:16
	v_cmpx_eq_u32_e32 0, v2
	s_cbranch_execz .LBB6_1853
; %bb.1852:
	s_bcnt1_i32_b32 s11, s11
	v_mov_b32_e32 v2, s11
	s_waitcnt vmcnt(0)
	global_atomic_add_x2 v[0:1], v[2:3], off offset:8
.LBB6_1853:
	s_or_b32 exec_lo, exec_lo, s10
	s_waitcnt vmcnt(0)
	global_load_dwordx2 v[2:3], v[0:1], off offset:16
	s_waitcnt vmcnt(0)
	v_cmp_eq_u64_e32 vcc_lo, 0, v[2:3]
	s_cbranch_vccnz .LBB6_1855
; %bb.1854:
	global_load_dword v0, v[0:1], off offset:24
	v_mov_b32_e32 v1, 0
	s_waitcnt vmcnt(0)
	v_readfirstlane_b32 s10, v0
	s_waitcnt_vscnt null, 0x0
	global_store_dwordx2 v[2:3], v[0:1], off
	s_and_b32 m0, s10, 0x7fffff
	s_sendmsg sendmsg(MSG_INTERRUPT)
.LBB6_1855:
	s_or_b32 exec_lo, exec_lo, s5
	s_branch .LBB6_1859
.LBB6_1856:                             ;   in Loop: Header=BB6_1859 Depth=1
	s_or_b32 exec_lo, exec_lo, s5
	v_readfirstlane_b32 s5, v0
	s_cmp_eq_u32 s5, 0
	s_cbranch_scc1 .LBB6_1858
; %bb.1857:                             ;   in Loop: Header=BB6_1859 Depth=1
	s_sleep 1
	s_cbranch_execnz .LBB6_1859
	s_branch .LBB6_1861
.LBB6_1858:
	s_branch .LBB6_1861
.LBB6_1859:                             ; =>This Inner Loop Header: Depth=1
	v_mov_b32_e32 v0, 1
	s_and_saveexec_b32 s5, s4
	s_cbranch_execz .LBB6_1856
; %bb.1860:                             ;   in Loop: Header=BB6_1859 Depth=1
	global_load_dword v0, v[8:9], off offset:20 glc dlc
	s_waitcnt vmcnt(0)
	buffer_gl1_inv
	buffer_gl0_inv
	v_and_b32_e32 v0, 1, v0
	s_branch .LBB6_1856
.LBB6_1861:
	global_load_dwordx2 v[0:1], v[10:11], off
	s_and_saveexec_b32 s10, s4
	s_cbranch_execz .LBB6_1865
; %bb.1862:
	v_mov_b32_e32 v8, 0
	s_clause 0x2
	global_load_dwordx2 v[2:3], v8, s[6:7] offset:40
	global_load_dwordx2 v[11:12], v8, s[6:7] offset:24 glc dlc
	global_load_dwordx2 v[4:5], v8, s[6:7]
	s_waitcnt vmcnt(2)
	v_readfirstlane_b32 s12, v2
	v_readfirstlane_b32 s13, v3
	s_add_u32 s11, s12, 1
	s_addc_u32 s14, s13, 0
	s_add_u32 s4, s11, s8
	s_addc_u32 s5, s14, s9
	s_cmp_eq_u64 s[4:5], 0
	s_cselect_b32 s5, s14, s5
	s_cselect_b32 s4, s11, s4
	v_mov_b32_e32 v10, s5
	s_and_b64 s[8:9], s[4:5], s[12:13]
	v_mov_b32_e32 v9, s4
	s_mul_i32 s9, s9, 24
	s_mul_hi_u32 s11, s8, 24
	s_mul_i32 s8, s8, 24
	s_add_i32 s11, s11, s9
	s_waitcnt vmcnt(0)
	v_add_co_u32 v6, vcc_lo, v4, s8
	v_add_co_ci_u32_e64 v7, null, s11, v5, vcc_lo
	global_store_dwordx2 v[6:7], v[11:12], off
	s_waitcnt_vscnt null, 0x0
	global_atomic_cmpswap_x2 v[4:5], v8, v[9:12], s[6:7] offset:24 glc
	s_waitcnt vmcnt(0)
	v_cmp_ne_u64_e32 vcc_lo, v[4:5], v[11:12]
	s_and_b32 exec_lo, exec_lo, vcc_lo
	s_cbranch_execz .LBB6_1865
; %bb.1863:
	s_mov_b32 s8, 0
.LBB6_1864:                             ; =>This Inner Loop Header: Depth=1
	v_mov_b32_e32 v2, s4
	v_mov_b32_e32 v3, s5
	s_sleep 1
	global_store_dwordx2 v[6:7], v[4:5], off
	s_waitcnt_vscnt null, 0x0
	global_atomic_cmpswap_x2 v[2:3], v8, v[2:5], s[6:7] offset:24 glc
	s_waitcnt vmcnt(0)
	v_cmp_eq_u64_e32 vcc_lo, v[2:3], v[4:5]
	v_mov_b32_e32 v5, v3
	v_mov_b32_e32 v4, v2
	s_or_b32 s8, vcc_lo, s8
	s_andn2_b32 exec_lo, exec_lo, s8
	s_cbranch_execnz .LBB6_1864
.LBB6_1865:
	s_or_b32 exec_lo, exec_lo, s10
	s_getpc_b64 s[8:9]
	s_add_u32 s8, s8, .str.28@rel32@lo+4
	s_addc_u32 s9, s9, .str.28@rel32@hi+12
	s_cmp_lg_u64 s[8:9], 0
	s_cbranch_scc0 .LBB6_1951
; %bb.1866:
	s_waitcnt vmcnt(0)
	v_and_b32_e32 v6, -3, v0
	v_mov_b32_e32 v7, v1
	v_mov_b32_e32 v3, 0
	;; [unrolled: 1-line block ×4, first 2 shown]
	s_mov_b64 s[10:11], 35
	s_branch .LBB6_1868
.LBB6_1867:                             ;   in Loop: Header=BB6_1868 Depth=1
	s_or_b32 exec_lo, exec_lo, s16
	s_sub_u32 s10, s10, s12
	s_subb_u32 s11, s11, s13
	s_add_u32 s8, s8, s12
	s_addc_u32 s9, s9, s13
	s_cmp_lg_u64 s[10:11], 0
	s_cbranch_scc0 .LBB6_1950
.LBB6_1868:                             ; =>This Loop Header: Depth=1
                                        ;     Child Loop BB6_1871 Depth 2
                                        ;     Child Loop BB6_1879 Depth 2
	;; [unrolled: 1-line block ×11, first 2 shown]
	v_cmp_lt_u64_e64 s4, s[10:11], 56
	v_cmp_gt_u64_e64 s14, s[10:11], 7
	s_and_b32 s4, s4, exec_lo
	s_cselect_b32 s13, s11, 0
	s_cselect_b32 s12, s10, 56
	s_add_u32 s4, s8, 8
	s_addc_u32 s5, s9, 0
	s_and_b32 vcc_lo, exec_lo, s14
	s_cbranch_vccnz .LBB6_1873
; %bb.1869:                             ;   in Loop: Header=BB6_1868 Depth=1
	s_waitcnt vmcnt(0)
	v_mov_b32_e32 v8, 0
	v_mov_b32_e32 v9, 0
	s_cmp_eq_u64 s[10:11], 0
	s_cbranch_scc1 .LBB6_1872
; %bb.1870:                             ;   in Loop: Header=BB6_1868 Depth=1
	s_lshl_b64 s[4:5], s[12:13], 3
	s_mov_b64 s[14:15], 0
	s_mov_b64 s[16:17], s[8:9]
.LBB6_1871:                             ;   Parent Loop BB6_1868 Depth=1
                                        ; =>  This Inner Loop Header: Depth=2
	global_load_ubyte v2, v3, s[16:17]
	s_waitcnt vmcnt(0)
	v_and_b32_e32 v2, 0xffff, v2
	v_lshlrev_b64 v[10:11], s14, v[2:3]
	s_add_u32 s14, s14, 8
	s_addc_u32 s15, s15, 0
	s_add_u32 s16, s16, 1
	s_addc_u32 s17, s17, 0
	s_cmp_lg_u32 s4, s14
	v_or_b32_e32 v8, v10, v8
	v_or_b32_e32 v9, v11, v9
	s_cbranch_scc1 .LBB6_1871
.LBB6_1872:                             ;   in Loop: Header=BB6_1868 Depth=1
	s_mov_b32 s14, 0
	s_mov_b64 s[4:5], s[8:9]
	s_branch .LBB6_1874
.LBB6_1873:                             ;   in Loop: Header=BB6_1868 Depth=1
	s_mov_b32 s14, -1
.LBB6_1874:                             ;   in Loop: Header=BB6_1868 Depth=1
	s_andn2_b32 vcc_lo, exec_lo, s14
	s_mov_b32 s18, 0
	s_cbranch_vccnz .LBB6_1876
; %bb.1875:                             ;   in Loop: Header=BB6_1868 Depth=1
	global_load_dwordx2 v[8:9], v3, s[8:9]
	s_add_i32 s18, s12, -8
.LBB6_1876:                             ;   in Loop: Header=BB6_1868 Depth=1
	s_add_u32 s14, s4, 8
	s_addc_u32 s15, s5, 0
	s_cmp_gt_u32 s18, 7
	s_cbranch_scc1 .LBB6_1881
; %bb.1877:                             ;   in Loop: Header=BB6_1868 Depth=1
	v_mov_b32_e32 v10, 0
	v_mov_b32_e32 v11, 0
	s_cmp_eq_u32 s18, 0
	s_cbranch_scc1 .LBB6_1880
; %bb.1878:                             ;   in Loop: Header=BB6_1868 Depth=1
	s_mov_b64 s[14:15], 0
	s_mov_b64 s[16:17], 0
.LBB6_1879:                             ;   Parent Loop BB6_1868 Depth=1
                                        ; =>  This Inner Loop Header: Depth=2
	s_add_u32 s46, s4, s16
	s_addc_u32 s47, s5, s17
	s_add_u32 s16, s16, 1
	global_load_ubyte v2, v3, s[46:47]
	s_addc_u32 s17, s17, 0
	s_waitcnt vmcnt(0)
	v_and_b32_e32 v2, 0xffff, v2
	v_lshlrev_b64 v[12:13], s14, v[2:3]
	s_add_u32 s14, s14, 8
	s_addc_u32 s15, s15, 0
	s_cmp_lg_u32 s18, s16
	v_or_b32_e32 v10, v12, v10
	v_or_b32_e32 v11, v13, v11
	s_cbranch_scc1 .LBB6_1879
.LBB6_1880:                             ;   in Loop: Header=BB6_1868 Depth=1
	s_mov_b32 s16, 0
	s_mov_b64 s[14:15], s[4:5]
	s_branch .LBB6_1882
.LBB6_1881:                             ;   in Loop: Header=BB6_1868 Depth=1
	s_mov_b32 s16, -1
                                        ; implicit-def: $vgpr10_vgpr11
.LBB6_1882:                             ;   in Loop: Header=BB6_1868 Depth=1
	s_andn2_b32 vcc_lo, exec_lo, s16
	s_mov_b32 s19, 0
	s_cbranch_vccnz .LBB6_1884
; %bb.1883:                             ;   in Loop: Header=BB6_1868 Depth=1
	global_load_dwordx2 v[10:11], v3, s[4:5]
	s_add_i32 s19, s18, -8
.LBB6_1884:                             ;   in Loop: Header=BB6_1868 Depth=1
	s_add_u32 s4, s14, 8
	s_addc_u32 s5, s15, 0
	s_cmp_gt_u32 s19, 7
	s_cbranch_scc1 .LBB6_1889
; %bb.1885:                             ;   in Loop: Header=BB6_1868 Depth=1
	v_mov_b32_e32 v12, 0
	v_mov_b32_e32 v13, 0
	s_cmp_eq_u32 s19, 0
	s_cbranch_scc1 .LBB6_1888
; %bb.1886:                             ;   in Loop: Header=BB6_1868 Depth=1
	s_mov_b64 s[4:5], 0
	s_mov_b64 s[16:17], 0
.LBB6_1887:                             ;   Parent Loop BB6_1868 Depth=1
                                        ; =>  This Inner Loop Header: Depth=2
	s_add_u32 s46, s14, s16
	s_addc_u32 s47, s15, s17
	s_add_u32 s16, s16, 1
	global_load_ubyte v2, v3, s[46:47]
	s_addc_u32 s17, s17, 0
	s_waitcnt vmcnt(0)
	v_and_b32_e32 v2, 0xffff, v2
	v_lshlrev_b64 v[14:15], s4, v[2:3]
	s_add_u32 s4, s4, 8
	s_addc_u32 s5, s5, 0
	s_cmp_lg_u32 s19, s16
	v_or_b32_e32 v12, v14, v12
	v_or_b32_e32 v13, v15, v13
	s_cbranch_scc1 .LBB6_1887
.LBB6_1888:                             ;   in Loop: Header=BB6_1868 Depth=1
	s_mov_b32 s16, 0
	s_mov_b64 s[4:5], s[14:15]
	s_branch .LBB6_1890
.LBB6_1889:                             ;   in Loop: Header=BB6_1868 Depth=1
	s_mov_b32 s16, -1
.LBB6_1890:                             ;   in Loop: Header=BB6_1868 Depth=1
	s_andn2_b32 vcc_lo, exec_lo, s16
	s_mov_b32 s18, 0
	s_cbranch_vccnz .LBB6_1892
; %bb.1891:                             ;   in Loop: Header=BB6_1868 Depth=1
	global_load_dwordx2 v[12:13], v3, s[14:15]
	s_add_i32 s18, s19, -8
.LBB6_1892:                             ;   in Loop: Header=BB6_1868 Depth=1
	s_add_u32 s14, s4, 8
	s_addc_u32 s15, s5, 0
	s_cmp_gt_u32 s18, 7
	s_cbranch_scc1 .LBB6_1897
; %bb.1893:                             ;   in Loop: Header=BB6_1868 Depth=1
	v_mov_b32_e32 v14, 0
	v_mov_b32_e32 v15, 0
	s_cmp_eq_u32 s18, 0
	s_cbranch_scc1 .LBB6_1896
; %bb.1894:                             ;   in Loop: Header=BB6_1868 Depth=1
	s_mov_b64 s[14:15], 0
	s_mov_b64 s[16:17], 0
.LBB6_1895:                             ;   Parent Loop BB6_1868 Depth=1
                                        ; =>  This Inner Loop Header: Depth=2
	s_add_u32 s46, s4, s16
	s_addc_u32 s47, s5, s17
	s_add_u32 s16, s16, 1
	global_load_ubyte v2, v3, s[46:47]
	s_addc_u32 s17, s17, 0
	s_waitcnt vmcnt(0)
	v_and_b32_e32 v2, 0xffff, v2
	v_lshlrev_b64 v[16:17], s14, v[2:3]
	s_add_u32 s14, s14, 8
	s_addc_u32 s15, s15, 0
	s_cmp_lg_u32 s18, s16
	v_or_b32_e32 v14, v16, v14
	v_or_b32_e32 v15, v17, v15
	s_cbranch_scc1 .LBB6_1895
.LBB6_1896:                             ;   in Loop: Header=BB6_1868 Depth=1
	s_mov_b32 s16, 0
	s_mov_b64 s[14:15], s[4:5]
	s_branch .LBB6_1898
.LBB6_1897:                             ;   in Loop: Header=BB6_1868 Depth=1
	s_mov_b32 s16, -1
                                        ; implicit-def: $vgpr14_vgpr15
.LBB6_1898:                             ;   in Loop: Header=BB6_1868 Depth=1
	s_andn2_b32 vcc_lo, exec_lo, s16
	s_mov_b32 s19, 0
	s_cbranch_vccnz .LBB6_1900
; %bb.1899:                             ;   in Loop: Header=BB6_1868 Depth=1
	global_load_dwordx2 v[14:15], v3, s[4:5]
	s_add_i32 s19, s18, -8
.LBB6_1900:                             ;   in Loop: Header=BB6_1868 Depth=1
	s_add_u32 s4, s14, 8
	s_addc_u32 s5, s15, 0
	s_cmp_gt_u32 s19, 7
	s_cbranch_scc1 .LBB6_1905
; %bb.1901:                             ;   in Loop: Header=BB6_1868 Depth=1
	v_mov_b32_e32 v16, 0
	v_mov_b32_e32 v17, 0
	s_cmp_eq_u32 s19, 0
	s_cbranch_scc1 .LBB6_1904
; %bb.1902:                             ;   in Loop: Header=BB6_1868 Depth=1
	s_mov_b64 s[4:5], 0
	s_mov_b64 s[16:17], 0
.LBB6_1903:                             ;   Parent Loop BB6_1868 Depth=1
                                        ; =>  This Inner Loop Header: Depth=2
	s_add_u32 s46, s14, s16
	s_addc_u32 s47, s15, s17
	s_add_u32 s16, s16, 1
	global_load_ubyte v2, v3, s[46:47]
	s_addc_u32 s17, s17, 0
	s_waitcnt vmcnt(0)
	v_and_b32_e32 v2, 0xffff, v2
	v_lshlrev_b64 v[18:19], s4, v[2:3]
	s_add_u32 s4, s4, 8
	s_addc_u32 s5, s5, 0
	s_cmp_lg_u32 s19, s16
	v_or_b32_e32 v16, v18, v16
	v_or_b32_e32 v17, v19, v17
	s_cbranch_scc1 .LBB6_1903
.LBB6_1904:                             ;   in Loop: Header=BB6_1868 Depth=1
	s_mov_b32 s16, 0
	s_mov_b64 s[4:5], s[14:15]
	s_branch .LBB6_1906
.LBB6_1905:                             ;   in Loop: Header=BB6_1868 Depth=1
	s_mov_b32 s16, -1
.LBB6_1906:                             ;   in Loop: Header=BB6_1868 Depth=1
	s_andn2_b32 vcc_lo, exec_lo, s16
	s_mov_b32 s18, 0
	s_cbranch_vccnz .LBB6_1908
; %bb.1907:                             ;   in Loop: Header=BB6_1868 Depth=1
	global_load_dwordx2 v[16:17], v3, s[14:15]
	s_add_i32 s18, s19, -8
.LBB6_1908:                             ;   in Loop: Header=BB6_1868 Depth=1
	s_add_u32 s14, s4, 8
	s_addc_u32 s15, s5, 0
	s_cmp_gt_u32 s18, 7
	s_cbranch_scc1 .LBB6_1913
; %bb.1909:                             ;   in Loop: Header=BB6_1868 Depth=1
	v_mov_b32_e32 v18, 0
	v_mov_b32_e32 v19, 0
	s_cmp_eq_u32 s18, 0
	s_cbranch_scc1 .LBB6_1912
; %bb.1910:                             ;   in Loop: Header=BB6_1868 Depth=1
	s_mov_b64 s[14:15], 0
	s_mov_b64 s[16:17], 0
.LBB6_1911:                             ;   Parent Loop BB6_1868 Depth=1
                                        ; =>  This Inner Loop Header: Depth=2
	s_add_u32 s46, s4, s16
	s_addc_u32 s47, s5, s17
	s_add_u32 s16, s16, 1
	global_load_ubyte v2, v3, s[46:47]
	s_addc_u32 s17, s17, 0
	s_waitcnt vmcnt(0)
	v_and_b32_e32 v2, 0xffff, v2
	v_lshlrev_b64 v[20:21], s14, v[2:3]
	s_add_u32 s14, s14, 8
	s_addc_u32 s15, s15, 0
	s_cmp_lg_u32 s18, s16
	v_or_b32_e32 v18, v20, v18
	v_or_b32_e32 v19, v21, v19
	s_cbranch_scc1 .LBB6_1911
.LBB6_1912:                             ;   in Loop: Header=BB6_1868 Depth=1
	s_mov_b32 s16, 0
	s_mov_b64 s[14:15], s[4:5]
	s_branch .LBB6_1914
.LBB6_1913:                             ;   in Loop: Header=BB6_1868 Depth=1
	s_mov_b32 s16, -1
                                        ; implicit-def: $vgpr18_vgpr19
.LBB6_1914:                             ;   in Loop: Header=BB6_1868 Depth=1
	s_andn2_b32 vcc_lo, exec_lo, s16
	s_mov_b32 s19, 0
	s_cbranch_vccnz .LBB6_1916
; %bb.1915:                             ;   in Loop: Header=BB6_1868 Depth=1
	global_load_dwordx2 v[18:19], v3, s[4:5]
	s_add_i32 s19, s18, -8
.LBB6_1916:                             ;   in Loop: Header=BB6_1868 Depth=1
	s_cmp_gt_u32 s19, 7
	s_cbranch_scc1 .LBB6_1921
; %bb.1917:                             ;   in Loop: Header=BB6_1868 Depth=1
	v_mov_b32_e32 v20, 0
	v_mov_b32_e32 v21, 0
	s_cmp_eq_u32 s19, 0
	s_cbranch_scc1 .LBB6_1920
; %bb.1918:                             ;   in Loop: Header=BB6_1868 Depth=1
	s_mov_b64 s[4:5], 0
	s_mov_b64 s[16:17], s[14:15]
.LBB6_1919:                             ;   Parent Loop BB6_1868 Depth=1
                                        ; =>  This Inner Loop Header: Depth=2
	global_load_ubyte v2, v3, s[16:17]
	s_add_i32 s19, s19, -1
	s_waitcnt vmcnt(0)
	v_and_b32_e32 v2, 0xffff, v2
	v_lshlrev_b64 v[22:23], s4, v[2:3]
	s_add_u32 s4, s4, 8
	s_addc_u32 s5, s5, 0
	s_add_u32 s16, s16, 1
	s_addc_u32 s17, s17, 0
	s_cmp_lg_u32 s19, 0
	v_or_b32_e32 v20, v22, v20
	v_or_b32_e32 v21, v23, v21
	s_cbranch_scc1 .LBB6_1919
.LBB6_1920:                             ;   in Loop: Header=BB6_1868 Depth=1
	s_mov_b32 s4, 0
	s_branch .LBB6_1922
.LBB6_1921:                             ;   in Loop: Header=BB6_1868 Depth=1
	s_mov_b32 s4, -1
.LBB6_1922:                             ;   in Loop: Header=BB6_1868 Depth=1
	s_andn2_b32 vcc_lo, exec_lo, s4
	s_cbranch_vccnz .LBB6_1924
; %bb.1923:                             ;   in Loop: Header=BB6_1868 Depth=1
	global_load_dwordx2 v[20:21], v3, s[14:15]
.LBB6_1924:                             ;   in Loop: Header=BB6_1868 Depth=1
	v_readfirstlane_b32 s4, v29
	v_mov_b32_e32 v26, 0
	v_mov_b32_e32 v27, 0
	v_cmp_eq_u32_e64 s4, s4, v29
	s_and_saveexec_b32 s5, s4
	s_cbranch_execz .LBB6_1930
; %bb.1925:                             ;   in Loop: Header=BB6_1868 Depth=1
	global_load_dwordx2 v[24:25], v3, s[6:7] offset:24 glc dlc
	s_waitcnt vmcnt(0)
	buffer_gl1_inv
	buffer_gl0_inv
	s_clause 0x1
	global_load_dwordx2 v[22:23], v3, s[6:7] offset:40
	global_load_dwordx2 v[26:27], v3, s[6:7]
	s_mov_b32 s14, exec_lo
	s_waitcnt vmcnt(1)
	v_and_b32_e32 v2, v23, v25
	v_and_b32_e32 v22, v22, v24
	v_mul_lo_u32 v2, v2, 24
	v_mul_hi_u32 v23, v22, 24
	v_mul_lo_u32 v22, v22, 24
	v_add_nc_u32_e32 v2, v23, v2
	s_waitcnt vmcnt(0)
	v_add_co_u32 v22, vcc_lo, v26, v22
	v_add_co_ci_u32_e64 v23, null, v27, v2, vcc_lo
	global_load_dwordx2 v[22:23], v[22:23], off glc dlc
	s_waitcnt vmcnt(0)
	global_atomic_cmpswap_x2 v[26:27], v3, v[22:25], s[6:7] offset:24 glc
	s_waitcnt vmcnt(0)
	buffer_gl1_inv
	buffer_gl0_inv
	v_cmpx_ne_u64_e64 v[26:27], v[24:25]
	s_cbranch_execz .LBB6_1929
; %bb.1926:                             ;   in Loop: Header=BB6_1868 Depth=1
	s_mov_b32 s15, 0
.LBB6_1927:                             ;   Parent Loop BB6_1868 Depth=1
                                        ; =>  This Inner Loop Header: Depth=2
	s_sleep 1
	s_clause 0x1
	global_load_dwordx2 v[22:23], v3, s[6:7] offset:40
	global_load_dwordx2 v[30:31], v3, s[6:7]
	v_mov_b32_e32 v24, v26
	v_mov_b32_e32 v25, v27
	s_waitcnt vmcnt(1)
	v_and_b32_e32 v2, v22, v24
	v_and_b32_e32 v22, v23, v25
	s_waitcnt vmcnt(0)
	v_mad_u64_u32 v[26:27], null, v2, 24, v[30:31]
	v_mov_b32_e32 v2, v27
	v_mad_u64_u32 v[22:23], null, v22, 24, v[2:3]
	v_mov_b32_e32 v27, v22
	global_load_dwordx2 v[22:23], v[26:27], off glc dlc
	s_waitcnt vmcnt(0)
	global_atomic_cmpswap_x2 v[26:27], v3, v[22:25], s[6:7] offset:24 glc
	s_waitcnt vmcnt(0)
	buffer_gl1_inv
	buffer_gl0_inv
	v_cmp_eq_u64_e32 vcc_lo, v[26:27], v[24:25]
	s_or_b32 s15, vcc_lo, s15
	s_andn2_b32 exec_lo, exec_lo, s15
	s_cbranch_execnz .LBB6_1927
; %bb.1928:                             ;   in Loop: Header=BB6_1868 Depth=1
	s_or_b32 exec_lo, exec_lo, s15
.LBB6_1929:                             ;   in Loop: Header=BB6_1868 Depth=1
	s_or_b32 exec_lo, exec_lo, s14
.LBB6_1930:                             ;   in Loop: Header=BB6_1868 Depth=1
	s_or_b32 exec_lo, exec_lo, s5
	s_clause 0x1
	global_load_dwordx2 v[30:31], v3, s[6:7] offset:40
	global_load_dwordx4 v[22:25], v3, s[6:7]
	v_readfirstlane_b32 s15, v27
	v_readfirstlane_b32 s14, v26
	s_mov_b32 s5, exec_lo
	s_waitcnt vmcnt(1)
	v_readfirstlane_b32 s16, v30
	v_readfirstlane_b32 s17, v31
	s_and_b64 s[16:17], s[16:17], s[14:15]
	s_mul_i32 s18, s17, 24
	s_mul_hi_u32 s19, s16, 24
	s_mul_i32 s20, s16, 24
	s_add_i32 s19, s19, s18
	s_waitcnt vmcnt(0)
	v_add_co_u32 v26, vcc_lo, v22, s20
	v_add_co_ci_u32_e64 v27, null, s19, v23, vcc_lo
	s_and_saveexec_b32 s18, s4
	s_cbranch_execz .LBB6_1932
; %bb.1931:                             ;   in Loop: Header=BB6_1868 Depth=1
	v_mov_b32_e32 v2, s5
	global_store_dwordx4 v[26:27], v[2:5], off offset:8
.LBB6_1932:                             ;   in Loop: Header=BB6_1868 Depth=1
	s_or_b32 exec_lo, exec_lo, s18
	v_cmp_gt_u64_e64 s5, s[10:11], 56
	s_lshl_b64 s[16:17], s[16:17], 12
	v_and_b32_e32 v2, 0xffffff1f, v6
	v_add_co_u32 v24, vcc_lo, v24, s16
	v_add_co_ci_u32_e64 v25, null, s17, v25, vcc_lo
	s_and_b32 s5, s5, exec_lo
	s_cselect_b32 s5, 0, 2
	s_lshl_b32 s18, s12, 2
	v_or_b32_e32 v2, s5, v2
	v_readfirstlane_b32 s16, v24
	v_readfirstlane_b32 s17, v25
	s_add_i32 s18, s18, 28
	v_and_or_b32 v6, 0x1e0, s18, v2
	global_store_dwordx4 v28, v[10:13], s[16:17] offset:16
	global_store_dwordx4 v28, v[14:17], s[16:17] offset:32
	global_store_dwordx4 v28, v[6:9], s[16:17]
	global_store_dwordx4 v28, v[18:21], s[16:17] offset:48
	s_and_saveexec_b32 s5, s4
	s_cbranch_execz .LBB6_1940
; %bb.1933:                             ;   in Loop: Header=BB6_1868 Depth=1
	s_clause 0x1
	global_load_dwordx2 v[14:15], v3, s[6:7] offset:32 glc dlc
	global_load_dwordx2 v[6:7], v3, s[6:7] offset:40
	v_mov_b32_e32 v12, s14
	v_mov_b32_e32 v13, s15
	s_waitcnt vmcnt(0)
	v_readfirstlane_b32 s16, v6
	v_readfirstlane_b32 s17, v7
	s_and_b64 s[16:17], s[16:17], s[14:15]
	s_mul_i32 s17, s17, 24
	s_mul_hi_u32 s18, s16, 24
	s_mul_i32 s16, s16, 24
	s_add_i32 s18, s18, s17
	v_add_co_u32 v10, vcc_lo, v22, s16
	v_add_co_ci_u32_e64 v11, null, s18, v23, vcc_lo
	s_mov_b32 s16, exec_lo
	global_store_dwordx2 v[10:11], v[14:15], off
	s_waitcnt_vscnt null, 0x0
	global_atomic_cmpswap_x2 v[8:9], v3, v[12:15], s[6:7] offset:32 glc
	s_waitcnt vmcnt(0)
	v_cmpx_ne_u64_e64 v[8:9], v[14:15]
	s_cbranch_execz .LBB6_1936
; %bb.1934:                             ;   in Loop: Header=BB6_1868 Depth=1
	s_mov_b32 s17, 0
.LBB6_1935:                             ;   Parent Loop BB6_1868 Depth=1
                                        ; =>  This Inner Loop Header: Depth=2
	v_mov_b32_e32 v6, s14
	v_mov_b32_e32 v7, s15
	s_sleep 1
	global_store_dwordx2 v[10:11], v[8:9], off
	s_waitcnt_vscnt null, 0x0
	global_atomic_cmpswap_x2 v[6:7], v3, v[6:9], s[6:7] offset:32 glc
	s_waitcnt vmcnt(0)
	v_cmp_eq_u64_e32 vcc_lo, v[6:7], v[8:9]
	v_mov_b32_e32 v9, v7
	v_mov_b32_e32 v8, v6
	s_or_b32 s17, vcc_lo, s17
	s_andn2_b32 exec_lo, exec_lo, s17
	s_cbranch_execnz .LBB6_1935
.LBB6_1936:                             ;   in Loop: Header=BB6_1868 Depth=1
	s_or_b32 exec_lo, exec_lo, s16
	global_load_dwordx2 v[6:7], v3, s[6:7] offset:16
	s_mov_b32 s17, exec_lo
	s_mov_b32 s16, exec_lo
	v_mbcnt_lo_u32_b32 v2, s17, 0
	v_cmpx_eq_u32_e32 0, v2
	s_cbranch_execz .LBB6_1938
; %bb.1937:                             ;   in Loop: Header=BB6_1868 Depth=1
	s_bcnt1_i32_b32 s17, s17
	v_mov_b32_e32 v2, s17
	s_waitcnt vmcnt(0)
	global_atomic_add_x2 v[6:7], v[2:3], off offset:8
.LBB6_1938:                             ;   in Loop: Header=BB6_1868 Depth=1
	s_or_b32 exec_lo, exec_lo, s16
	s_waitcnt vmcnt(0)
	global_load_dwordx2 v[8:9], v[6:7], off offset:16
	s_waitcnt vmcnt(0)
	v_cmp_eq_u64_e32 vcc_lo, 0, v[8:9]
	s_cbranch_vccnz .LBB6_1940
; %bb.1939:                             ;   in Loop: Header=BB6_1868 Depth=1
	global_load_dword v2, v[6:7], off offset:24
	s_waitcnt vmcnt(0)
	v_readfirstlane_b32 s16, v2
	s_waitcnt_vscnt null, 0x0
	global_store_dwordx2 v[8:9], v[2:3], off
	s_and_b32 m0, s16, 0x7fffff
	s_sendmsg sendmsg(MSG_INTERRUPT)
.LBB6_1940:                             ;   in Loop: Header=BB6_1868 Depth=1
	s_or_b32 exec_lo, exec_lo, s5
	v_add_co_u32 v6, vcc_lo, v24, v28
	v_add_co_ci_u32_e64 v7, null, 0, v25, vcc_lo
	s_branch .LBB6_1944
	.p2align	6
.LBB6_1941:                             ;   in Loop: Header=BB6_1944 Depth=2
	s_or_b32 exec_lo, exec_lo, s5
	v_readfirstlane_b32 s5, v2
	s_cmp_eq_u32 s5, 0
	s_cbranch_scc1 .LBB6_1943
; %bb.1942:                             ;   in Loop: Header=BB6_1944 Depth=2
	s_sleep 1
	s_cbranch_execnz .LBB6_1944
	s_branch .LBB6_1946
	.p2align	6
.LBB6_1943:                             ;   in Loop: Header=BB6_1868 Depth=1
	s_branch .LBB6_1946
.LBB6_1944:                             ;   Parent Loop BB6_1868 Depth=1
                                        ; =>  This Inner Loop Header: Depth=2
	v_mov_b32_e32 v2, 1
	s_and_saveexec_b32 s5, s4
	s_cbranch_execz .LBB6_1941
; %bb.1945:                             ;   in Loop: Header=BB6_1944 Depth=2
	global_load_dword v2, v[26:27], off offset:20 glc dlc
	s_waitcnt vmcnt(0)
	buffer_gl1_inv
	buffer_gl0_inv
	v_and_b32_e32 v2, 1, v2
	s_branch .LBB6_1941
.LBB6_1946:                             ;   in Loop: Header=BB6_1868 Depth=1
	global_load_dwordx4 v[6:9], v[6:7], off
	s_and_saveexec_b32 s16, s4
	s_cbranch_execz .LBB6_1867
; %bb.1947:                             ;   in Loop: Header=BB6_1868 Depth=1
	s_clause 0x2
	global_load_dwordx2 v[8:9], v3, s[6:7] offset:40
	global_load_dwordx2 v[16:17], v3, s[6:7] offset:24 glc dlc
	global_load_dwordx2 v[10:11], v3, s[6:7]
	s_waitcnt vmcnt(2)
	v_readfirstlane_b32 s18, v8
	v_readfirstlane_b32 s19, v9
	s_add_u32 s17, s18, 1
	s_addc_u32 s20, s19, 0
	s_add_u32 s4, s17, s14
	s_addc_u32 s5, s20, s15
	s_cmp_eq_u64 s[4:5], 0
	s_cselect_b32 s5, s20, s5
	s_cselect_b32 s4, s17, s4
	v_mov_b32_e32 v15, s5
	s_and_b64 s[14:15], s[4:5], s[18:19]
	v_mov_b32_e32 v14, s4
	s_mul_i32 s15, s15, 24
	s_mul_hi_u32 s17, s14, 24
	s_mul_i32 s14, s14, 24
	s_add_i32 s17, s17, s15
	s_waitcnt vmcnt(0)
	v_add_co_u32 v12, vcc_lo, v10, s14
	v_add_co_ci_u32_e64 v13, null, s17, v11, vcc_lo
	global_store_dwordx2 v[12:13], v[16:17], off
	s_waitcnt_vscnt null, 0x0
	global_atomic_cmpswap_x2 v[10:11], v3, v[14:17], s[6:7] offset:24 glc
	s_waitcnt vmcnt(0)
	v_cmp_ne_u64_e32 vcc_lo, v[10:11], v[16:17]
	s_and_b32 exec_lo, exec_lo, vcc_lo
	s_cbranch_execz .LBB6_1867
; %bb.1948:                             ;   in Loop: Header=BB6_1868 Depth=1
	s_mov_b32 s14, 0
.LBB6_1949:                             ;   Parent Loop BB6_1868 Depth=1
                                        ; =>  This Inner Loop Header: Depth=2
	v_mov_b32_e32 v8, s4
	v_mov_b32_e32 v9, s5
	s_sleep 1
	global_store_dwordx2 v[12:13], v[10:11], off
	s_waitcnt_vscnt null, 0x0
	global_atomic_cmpswap_x2 v[8:9], v3, v[8:11], s[6:7] offset:24 glc
	s_waitcnt vmcnt(0)
	v_cmp_eq_u64_e32 vcc_lo, v[8:9], v[10:11]
	v_mov_b32_e32 v11, v9
	v_mov_b32_e32 v10, v8
	s_or_b32 s14, vcc_lo, s14
	s_andn2_b32 exec_lo, exec_lo, s14
	s_cbranch_execnz .LBB6_1949
	s_branch .LBB6_1867
.LBB6_1950:
	s_mov_b32 s4, 0
	s_branch .LBB6_1952
.LBB6_1951:
	s_mov_b32 s4, -1
.LBB6_1952:
	s_and_b32 vcc_lo, exec_lo, s4
	s_cbranch_vccz .LBB6_1980
; %bb.1953:
	v_readfirstlane_b32 s4, v29
	s_waitcnt vmcnt(0)
	v_mov_b32_e32 v8, 0
	v_mov_b32_e32 v9, 0
	v_cmp_eq_u32_e64 s4, s4, v29
	s_and_saveexec_b32 s5, s4
	s_cbranch_execz .LBB6_1959
; %bb.1954:
	v_mov_b32_e32 v2, 0
	s_mov_b32 s8, exec_lo
	global_load_dwordx2 v[5:6], v2, s[6:7] offset:24 glc dlc
	s_waitcnt vmcnt(0)
	buffer_gl1_inv
	buffer_gl0_inv
	s_clause 0x1
	global_load_dwordx2 v[3:4], v2, s[6:7] offset:40
	global_load_dwordx2 v[7:8], v2, s[6:7]
	s_waitcnt vmcnt(1)
	v_and_b32_e32 v4, v4, v6
	v_and_b32_e32 v3, v3, v5
	v_mul_lo_u32 v4, v4, 24
	v_mul_hi_u32 v9, v3, 24
	v_mul_lo_u32 v3, v3, 24
	v_add_nc_u32_e32 v4, v9, v4
	s_waitcnt vmcnt(0)
	v_add_co_u32 v3, vcc_lo, v7, v3
	v_add_co_ci_u32_e64 v4, null, v8, v4, vcc_lo
	global_load_dwordx2 v[3:4], v[3:4], off glc dlc
	s_waitcnt vmcnt(0)
	global_atomic_cmpswap_x2 v[8:9], v2, v[3:6], s[6:7] offset:24 glc
	s_waitcnt vmcnt(0)
	buffer_gl1_inv
	buffer_gl0_inv
	v_cmpx_ne_u64_e64 v[8:9], v[5:6]
	s_cbranch_execz .LBB6_1958
; %bb.1955:
	s_mov_b32 s9, 0
.LBB6_1956:                             ; =>This Inner Loop Header: Depth=1
	s_sleep 1
	s_clause 0x1
	global_load_dwordx2 v[3:4], v2, s[6:7] offset:40
	global_load_dwordx2 v[10:11], v2, s[6:7]
	v_mov_b32_e32 v5, v8
	v_mov_b32_e32 v6, v9
	s_waitcnt vmcnt(1)
	v_and_b32_e32 v3, v3, v5
	v_and_b32_e32 v4, v4, v6
	s_waitcnt vmcnt(0)
	v_mad_u64_u32 v[7:8], null, v3, 24, v[10:11]
	v_mov_b32_e32 v3, v8
	v_mad_u64_u32 v[3:4], null, v4, 24, v[3:4]
	v_mov_b32_e32 v8, v3
	global_load_dwordx2 v[3:4], v[7:8], off glc dlc
	s_waitcnt vmcnt(0)
	global_atomic_cmpswap_x2 v[8:9], v2, v[3:6], s[6:7] offset:24 glc
	s_waitcnt vmcnt(0)
	buffer_gl1_inv
	buffer_gl0_inv
	v_cmp_eq_u64_e32 vcc_lo, v[8:9], v[5:6]
	s_or_b32 s9, vcc_lo, s9
	s_andn2_b32 exec_lo, exec_lo, s9
	s_cbranch_execnz .LBB6_1956
; %bb.1957:
	s_or_b32 exec_lo, exec_lo, s9
.LBB6_1958:
	s_or_b32 exec_lo, exec_lo, s8
.LBB6_1959:
	s_or_b32 exec_lo, exec_lo, s5
	v_mov_b32_e32 v2, 0
	v_readfirstlane_b32 s9, v9
	v_readfirstlane_b32 s8, v8
	s_mov_b32 s5, exec_lo
	s_clause 0x1
	global_load_dwordx2 v[10:11], v2, s[6:7] offset:40
	global_load_dwordx4 v[4:7], v2, s[6:7]
	s_waitcnt vmcnt(1)
	v_readfirstlane_b32 s10, v10
	v_readfirstlane_b32 s11, v11
	s_and_b64 s[10:11], s[10:11], s[8:9]
	s_mul_i32 s12, s11, 24
	s_mul_hi_u32 s13, s10, 24
	s_mul_i32 s14, s10, 24
	s_add_i32 s13, s13, s12
	s_waitcnt vmcnt(0)
	v_add_co_u32 v8, vcc_lo, v4, s14
	v_add_co_ci_u32_e64 v9, null, s13, v5, vcc_lo
	s_and_saveexec_b32 s12, s4
	s_cbranch_execz .LBB6_1961
; %bb.1960:
	v_mov_b32_e32 v10, s5
	v_mov_b32_e32 v11, v2
	;; [unrolled: 1-line block ×4, first 2 shown]
	global_store_dwordx4 v[8:9], v[10:13], off offset:8
.LBB6_1961:
	s_or_b32 exec_lo, exec_lo, s12
	s_lshl_b64 s[10:11], s[10:11], 12
	s_mov_b32 s12, 0
	v_add_co_u32 v6, vcc_lo, v6, s10
	v_add_co_ci_u32_e64 v7, null, s11, v7, vcc_lo
	s_mov_b32 s13, s12
	s_mov_b32 s14, s12
	s_mov_b32 s15, s12
	v_and_or_b32 v0, 0xffffff1d, v0, 34
	v_mov_b32_e32 v3, v2
	v_readfirstlane_b32 s10, v6
	v_readfirstlane_b32 s11, v7
	v_mov_b32_e32 v10, s12
	v_mov_b32_e32 v11, s13
	;; [unrolled: 1-line block ×4, first 2 shown]
	global_store_dwordx4 v28, v[0:3], s[10:11]
	global_store_dwordx4 v28, v[10:13], s[10:11] offset:16
	global_store_dwordx4 v28, v[10:13], s[10:11] offset:32
	;; [unrolled: 1-line block ×3, first 2 shown]
	s_and_saveexec_b32 s5, s4
	s_cbranch_execz .LBB6_1969
; %bb.1962:
	v_mov_b32_e32 v6, 0
	v_mov_b32_e32 v10, s8
	;; [unrolled: 1-line block ×3, first 2 shown]
	s_clause 0x1
	global_load_dwordx2 v[12:13], v6, s[6:7] offset:32 glc dlc
	global_load_dwordx2 v[0:1], v6, s[6:7] offset:40
	s_waitcnt vmcnt(0)
	v_readfirstlane_b32 s10, v0
	v_readfirstlane_b32 s11, v1
	s_and_b64 s[10:11], s[10:11], s[8:9]
	s_mul_i32 s11, s11, 24
	s_mul_hi_u32 s12, s10, 24
	s_mul_i32 s10, s10, 24
	s_add_i32 s12, s12, s11
	v_add_co_u32 v4, vcc_lo, v4, s10
	v_add_co_ci_u32_e64 v5, null, s12, v5, vcc_lo
	s_mov_b32 s10, exec_lo
	global_store_dwordx2 v[4:5], v[12:13], off
	s_waitcnt_vscnt null, 0x0
	global_atomic_cmpswap_x2 v[2:3], v6, v[10:13], s[6:7] offset:32 glc
	s_waitcnt vmcnt(0)
	v_cmpx_ne_u64_e64 v[2:3], v[12:13]
	s_cbranch_execz .LBB6_1965
; %bb.1963:
	s_mov_b32 s11, 0
.LBB6_1964:                             ; =>This Inner Loop Header: Depth=1
	v_mov_b32_e32 v0, s8
	v_mov_b32_e32 v1, s9
	s_sleep 1
	global_store_dwordx2 v[4:5], v[2:3], off
	s_waitcnt_vscnt null, 0x0
	global_atomic_cmpswap_x2 v[0:1], v6, v[0:3], s[6:7] offset:32 glc
	s_waitcnt vmcnt(0)
	v_cmp_eq_u64_e32 vcc_lo, v[0:1], v[2:3]
	v_mov_b32_e32 v3, v1
	v_mov_b32_e32 v2, v0
	s_or_b32 s11, vcc_lo, s11
	s_andn2_b32 exec_lo, exec_lo, s11
	s_cbranch_execnz .LBB6_1964
.LBB6_1965:
	s_or_b32 exec_lo, exec_lo, s10
	v_mov_b32_e32 v3, 0
	s_mov_b32 s11, exec_lo
	s_mov_b32 s10, exec_lo
	v_mbcnt_lo_u32_b32 v2, s11, 0
	global_load_dwordx2 v[0:1], v3, s[6:7] offset:16
	v_cmpx_eq_u32_e32 0, v2
	s_cbranch_execz .LBB6_1967
; %bb.1966:
	s_bcnt1_i32_b32 s11, s11
	v_mov_b32_e32 v2, s11
	s_waitcnt vmcnt(0)
	global_atomic_add_x2 v[0:1], v[2:3], off offset:8
.LBB6_1967:
	s_or_b32 exec_lo, exec_lo, s10
	s_waitcnt vmcnt(0)
	global_load_dwordx2 v[2:3], v[0:1], off offset:16
	s_waitcnt vmcnt(0)
	v_cmp_eq_u64_e32 vcc_lo, 0, v[2:3]
	s_cbranch_vccnz .LBB6_1969
; %bb.1968:
	global_load_dword v0, v[0:1], off offset:24
	v_mov_b32_e32 v1, 0
	s_waitcnt vmcnt(0)
	v_readfirstlane_b32 s10, v0
	s_waitcnt_vscnt null, 0x0
	global_store_dwordx2 v[2:3], v[0:1], off
	s_and_b32 m0, s10, 0x7fffff
	s_sendmsg sendmsg(MSG_INTERRUPT)
.LBB6_1969:
	s_or_b32 exec_lo, exec_lo, s5
	s_branch .LBB6_1973
.LBB6_1970:                             ;   in Loop: Header=BB6_1973 Depth=1
	s_or_b32 exec_lo, exec_lo, s5
	v_readfirstlane_b32 s5, v0
	s_cmp_eq_u32 s5, 0
	s_cbranch_scc1 .LBB6_1972
; %bb.1971:                             ;   in Loop: Header=BB6_1973 Depth=1
	s_sleep 1
	s_cbranch_execnz .LBB6_1973
	s_branch .LBB6_1975
.LBB6_1972:
	s_branch .LBB6_1975
.LBB6_1973:                             ; =>This Inner Loop Header: Depth=1
	v_mov_b32_e32 v0, 1
	s_and_saveexec_b32 s5, s4
	s_cbranch_execz .LBB6_1970
; %bb.1974:                             ;   in Loop: Header=BB6_1973 Depth=1
	global_load_dword v0, v[8:9], off offset:20 glc dlc
	s_waitcnt vmcnt(0)
	buffer_gl1_inv
	buffer_gl0_inv
	v_and_b32_e32 v0, 1, v0
	s_branch .LBB6_1970
.LBB6_1975:
	s_and_saveexec_b32 s10, s4
	s_cbranch_execz .LBB6_1979
; %bb.1976:
	v_mov_b32_e32 v6, 0
	s_clause 0x2
	global_load_dwordx2 v[0:1], v6, s[6:7] offset:40
	global_load_dwordx2 v[9:10], v6, s[6:7] offset:24 glc dlc
	global_load_dwordx2 v[2:3], v6, s[6:7]
	s_waitcnt vmcnt(2)
	v_readfirstlane_b32 s12, v0
	v_readfirstlane_b32 s13, v1
	s_add_u32 s11, s12, 1
	s_addc_u32 s14, s13, 0
	s_add_u32 s4, s11, s8
	s_addc_u32 s5, s14, s9
	s_cmp_eq_u64 s[4:5], 0
	s_cselect_b32 s5, s14, s5
	s_cselect_b32 s4, s11, s4
	v_mov_b32_e32 v8, s5
	s_and_b64 s[8:9], s[4:5], s[12:13]
	v_mov_b32_e32 v7, s4
	s_mul_i32 s9, s9, 24
	s_mul_hi_u32 s11, s8, 24
	s_mul_i32 s8, s8, 24
	s_add_i32 s11, s11, s9
	s_waitcnt vmcnt(0)
	v_add_co_u32 v4, vcc_lo, v2, s8
	v_add_co_ci_u32_e64 v5, null, s11, v3, vcc_lo
	global_store_dwordx2 v[4:5], v[9:10], off
	s_waitcnt_vscnt null, 0x0
	global_atomic_cmpswap_x2 v[2:3], v6, v[7:10], s[6:7] offset:24 glc
	s_waitcnt vmcnt(0)
	v_cmp_ne_u64_e32 vcc_lo, v[2:3], v[9:10]
	s_and_b32 exec_lo, exec_lo, vcc_lo
	s_cbranch_execz .LBB6_1979
; %bb.1977:
	s_mov_b32 s8, 0
.LBB6_1978:                             ; =>This Inner Loop Header: Depth=1
	v_mov_b32_e32 v0, s4
	v_mov_b32_e32 v1, s5
	s_sleep 1
	global_store_dwordx2 v[4:5], v[2:3], off
	s_waitcnt_vscnt null, 0x0
	global_atomic_cmpswap_x2 v[0:1], v6, v[0:3], s[6:7] offset:24 glc
	s_waitcnt vmcnt(0)
	v_cmp_eq_u64_e32 vcc_lo, v[0:1], v[2:3]
	v_mov_b32_e32 v3, v1
	v_mov_b32_e32 v2, v0
	s_or_b32 s8, vcc_lo, s8
	s_andn2_b32 exec_lo, exec_lo, s8
	s_cbranch_execnz .LBB6_1978
.LBB6_1979:
	s_or_b32 exec_lo, exec_lo, s10
.LBB6_1980:
	s_getpc_b64 s[4:5]
	s_add_u32 s4, s4, .str.29@rel32@lo+4
	s_addc_u32 s5, s5, .str.29@rel32@hi+12
	s_getpc_b64 s[6:7]
	s_add_u32 s6, s6, .str.19@rel32@lo+4
	s_addc_u32 s7, s7, .str.19@rel32@hi+12
	s_getpc_b64 s[8:9]
	s_add_u32 s8, s8, __PRETTY_FUNCTION__._ZN7VecsMemIjLi8192EE5fetchEi@rel32@lo+4
	s_addc_u32 s9, s9, __PRETTY_FUNCTION__._ZN7VecsMemIjLi8192EE5fetchEi@rel32@hi+12
	s_waitcnt vmcnt(0)
	v_mov_b32_e32 v0, s4
	v_mov_b32_e32 v1, s5
	;; [unrolled: 1-line block ×7, first 2 shown]
	s_getpc_b64 s[10:11]
	s_add_u32 s10, s10, __assert_fail@rel32@lo+4
	s_addc_u32 s11, s11, __assert_fail@rel32@hi+12
	s_mov_b64 s[8:9], s[52:53]
	s_swappc_b64 s[30:31], s[10:11]
	s_or_b32 s4, s27, exec_lo
.LBB6_1981:
	s_or_b32 exec_lo, exec_lo, s45
	s_andn2_b32 s5, s27, exec_lo
	s_and_b32 s4, s4, exec_lo
	s_or_b32 s67, s5, s4
	s_orn2_b32 s5, s43, exec_lo
.LBB6_1982:
	s_or_b32 exec_lo, exec_lo, s42
	s_mov_b32 s4, 0
	s_mov_b32 s6, s28
                                        ; implicit-def: $vgpr41
	s_and_saveexec_b32 s68, s5
	s_cbranch_execz .LBB6_2352
; %bb.1983:
	v_mov_b32_e32 v69, 0
	v_mov_b32_e32 v0, 0
	;; [unrolled: 1-line block ×3, first 2 shown]
	s_mov_b32 s6, -1
	s_mov_b32 s69, s67
	buffer_store_dword v67, off, s[0:3], s33 offset:84
	buffer_store_dword v66, off, s[0:3], s33 offset:80
	;; [unrolled: 1-line block ×3, first 2 shown]
	s_and_saveexec_b32 s42, s21
	s_cbranch_execz .LBB6_2130
; %bb.1984:
	flat_load_dword v0, v[44:45]
	v_mov_b32_e32 v69, 0
	v_mov_b32_e32 v70, 0
	s_mov_b32 s21, 0
	s_mov_b32 s4, exec_lo
	s_waitcnt vmcnt(0) lgkmcnt(0)
	v_add_nc_u32_e32 v0, v0, v68
	v_cmpx_gt_i32_e32 0x2001, v0
	s_xor_b32 s4, exec_lo, s4
	s_cbranch_execz .LBB6_1986
; %bb.1985:
	v_ashrrev_i32_e32 v1, 31, v0
	v_mov_b32_e32 v69, 0
	s_mov_b32 s21, exec_lo
	flat_store_dword v[44:45], v0
	v_lshlrev_b64 v[1:2], 2, v[0:1]
	v_lshlrev_b64 v[3:4], 2, v[68:69]
	v_add_co_u32 v1, vcc_lo, v44, v1
	v_add_co_ci_u32_e64 v2, null, v45, v2, vcc_lo
	v_sub_co_u32 v1, vcc_lo, v1, v3
	v_sub_co_ci_u32_e64 v2, null, v2, v4, vcc_lo
	v_add_co_u32 v69, vcc_lo, v1, 4
	v_add_co_ci_u32_e64 v70, null, 0, v2, vcc_lo
.LBB6_1986:
	s_or_saveexec_b32 s43, s4
	s_mov_b32 s4, s67
	s_xor_b32 exec_lo, exec_lo, s43
	s_cbranch_execz .LBB6_2129
; %bb.1987:
	s_load_dwordx2 s[6:7], s[52:53], 0x50
	v_mbcnt_lo_u32_b32 v29, -1, 0
	v_mov_b32_e32 v6, 0
	v_mov_b32_e32 v7, 0
	v_readfirstlane_b32 s4, v29
	v_cmp_eq_u32_e64 s4, s4, v29
	s_and_saveexec_b32 s5, s4
	s_cbranch_execz .LBB6_1993
; %bb.1988:
	v_mov_b32_e32 v0, 0
	s_mov_b32 s8, exec_lo
	s_waitcnt lgkmcnt(0)
	global_load_dwordx2 v[3:4], v0, s[6:7] offset:24 glc dlc
	s_waitcnt vmcnt(0)
	buffer_gl1_inv
	buffer_gl0_inv
	s_clause 0x1
	global_load_dwordx2 v[1:2], v0, s[6:7] offset:40
	global_load_dwordx2 v[5:6], v0, s[6:7]
	s_waitcnt vmcnt(1)
	v_and_b32_e32 v2, v2, v4
	v_and_b32_e32 v1, v1, v3
	v_mul_lo_u32 v2, v2, 24
	v_mul_hi_u32 v7, v1, 24
	v_mul_lo_u32 v1, v1, 24
	v_add_nc_u32_e32 v2, v7, v2
	s_waitcnt vmcnt(0)
	v_add_co_u32 v1, vcc_lo, v5, v1
	v_add_co_ci_u32_e64 v2, null, v6, v2, vcc_lo
	global_load_dwordx2 v[1:2], v[1:2], off glc dlc
	s_waitcnt vmcnt(0)
	global_atomic_cmpswap_x2 v[6:7], v0, v[1:4], s[6:7] offset:24 glc
	s_waitcnt vmcnt(0)
	buffer_gl1_inv
	buffer_gl0_inv
	v_cmpx_ne_u64_e64 v[6:7], v[3:4]
	s_cbranch_execz .LBB6_1992
; %bb.1989:
	s_mov_b32 s9, 0
.LBB6_1990:                             ; =>This Inner Loop Header: Depth=1
	s_sleep 1
	s_clause 0x1
	global_load_dwordx2 v[1:2], v0, s[6:7] offset:40
	global_load_dwordx2 v[8:9], v0, s[6:7]
	v_mov_b32_e32 v3, v6
	v_mov_b32_e32 v4, v7
	s_waitcnt vmcnt(1)
	v_and_b32_e32 v1, v1, v3
	v_and_b32_e32 v2, v2, v4
	s_waitcnt vmcnt(0)
	v_mad_u64_u32 v[5:6], null, v1, 24, v[8:9]
	v_mov_b32_e32 v1, v6
	v_mad_u64_u32 v[1:2], null, v2, 24, v[1:2]
	v_mov_b32_e32 v6, v1
	global_load_dwordx2 v[1:2], v[5:6], off glc dlc
	s_waitcnt vmcnt(0)
	global_atomic_cmpswap_x2 v[6:7], v0, v[1:4], s[6:7] offset:24 glc
	s_waitcnt vmcnt(0)
	buffer_gl1_inv
	buffer_gl0_inv
	v_cmp_eq_u64_e32 vcc_lo, v[6:7], v[3:4]
	s_or_b32 s9, vcc_lo, s9
	s_andn2_b32 exec_lo, exec_lo, s9
	s_cbranch_execnz .LBB6_1990
; %bb.1991:
	s_or_b32 exec_lo, exec_lo, s9
.LBB6_1992:
	s_or_b32 exec_lo, exec_lo, s8
.LBB6_1993:
	s_or_b32 exec_lo, exec_lo, s5
	v_mov_b32_e32 v5, 0
	v_readfirstlane_b32 s9, v7
	v_readfirstlane_b32 s8, v6
	s_mov_b32 s5, exec_lo
	s_waitcnt lgkmcnt(0)
	s_clause 0x1
	global_load_dwordx2 v[8:9], v5, s[6:7] offset:40
	global_load_dwordx4 v[0:3], v5, s[6:7]
	s_waitcnt vmcnt(1)
	v_readfirstlane_b32 s10, v8
	v_readfirstlane_b32 s11, v9
	s_and_b64 s[10:11], s[10:11], s[8:9]
	s_mul_i32 s12, s11, 24
	s_mul_hi_u32 s13, s10, 24
	s_mul_i32 s14, s10, 24
	s_add_i32 s13, s13, s12
	s_waitcnt vmcnt(0)
	v_add_co_u32 v8, vcc_lo, v0, s14
	v_add_co_ci_u32_e64 v9, null, s13, v1, vcc_lo
	s_and_saveexec_b32 s12, s4
	s_cbranch_execz .LBB6_1995
; %bb.1994:
	v_mov_b32_e32 v4, s5
	v_mov_b32_e32 v6, 2
	;; [unrolled: 1-line block ×3, first 2 shown]
	global_store_dwordx4 v[8:9], v[4:7], off offset:8
.LBB6_1995:
	s_or_b32 exec_lo, exec_lo, s12
	s_lshl_b64 s[10:11], s[10:11], 12
	v_lshlrev_b32_e32 v28, 6, v29
	v_add_co_u32 v2, vcc_lo, v2, s10
	v_add_co_ci_u32_e64 v3, null, s11, v3, vcc_lo
	s_mov_b32 s12, 0
	v_add_co_u32 v10, vcc_lo, v2, v28
	s_mov_b32 s13, s12
	s_mov_b32 s14, s12
	;; [unrolled: 1-line block ×3, first 2 shown]
	v_mov_b32_e32 v4, 33
	v_mov_b32_e32 v6, v5
	v_mov_b32_e32 v7, v5
	v_readfirstlane_b32 s10, v2
	v_readfirstlane_b32 s11, v3
	v_mov_b32_e32 v12, s12
	v_add_co_ci_u32_e64 v11, null, 0, v3, vcc_lo
	v_mov_b32_e32 v13, s13
	v_mov_b32_e32 v14, s14
	;; [unrolled: 1-line block ×3, first 2 shown]
	global_store_dwordx4 v28, v[4:7], s[10:11]
	global_store_dwordx4 v28, v[12:15], s[10:11] offset:16
	global_store_dwordx4 v28, v[12:15], s[10:11] offset:32
	;; [unrolled: 1-line block ×3, first 2 shown]
	s_and_saveexec_b32 s5, s4
	s_cbranch_execz .LBB6_2003
; %bb.1996:
	v_mov_b32_e32 v6, 0
	v_mov_b32_e32 v12, s8
	;; [unrolled: 1-line block ×3, first 2 shown]
	s_mov_b32 s10, exec_lo
	s_clause 0x1
	global_load_dwordx2 v[14:15], v6, s[6:7] offset:32 glc dlc
	global_load_dwordx2 v[2:3], v6, s[6:7] offset:40
	s_waitcnt vmcnt(0)
	v_and_b32_e32 v3, s9, v3
	v_and_b32_e32 v2, s8, v2
	v_mul_lo_u32 v3, v3, 24
	v_mul_hi_u32 v4, v2, 24
	v_mul_lo_u32 v2, v2, 24
	v_add_nc_u32_e32 v3, v4, v3
	v_add_co_u32 v4, vcc_lo, v0, v2
	v_add_co_ci_u32_e64 v5, null, v1, v3, vcc_lo
	global_store_dwordx2 v[4:5], v[14:15], off
	s_waitcnt_vscnt null, 0x0
	global_atomic_cmpswap_x2 v[2:3], v6, v[12:15], s[6:7] offset:32 glc
	s_waitcnt vmcnt(0)
	v_cmpx_ne_u64_e64 v[2:3], v[14:15]
	s_cbranch_execz .LBB6_1999
; %bb.1997:
	s_mov_b32 s11, 0
.LBB6_1998:                             ; =>This Inner Loop Header: Depth=1
	v_mov_b32_e32 v0, s8
	v_mov_b32_e32 v1, s9
	s_sleep 1
	global_store_dwordx2 v[4:5], v[2:3], off
	s_waitcnt_vscnt null, 0x0
	global_atomic_cmpswap_x2 v[0:1], v6, v[0:3], s[6:7] offset:32 glc
	s_waitcnt vmcnt(0)
	v_cmp_eq_u64_e32 vcc_lo, v[0:1], v[2:3]
	v_mov_b32_e32 v3, v1
	v_mov_b32_e32 v2, v0
	s_or_b32 s11, vcc_lo, s11
	s_andn2_b32 exec_lo, exec_lo, s11
	s_cbranch_execnz .LBB6_1998
.LBB6_1999:
	s_or_b32 exec_lo, exec_lo, s10
	v_mov_b32_e32 v3, 0
	s_mov_b32 s11, exec_lo
	s_mov_b32 s10, exec_lo
	v_mbcnt_lo_u32_b32 v2, s11, 0
	global_load_dwordx2 v[0:1], v3, s[6:7] offset:16
	v_cmpx_eq_u32_e32 0, v2
	s_cbranch_execz .LBB6_2001
; %bb.2000:
	s_bcnt1_i32_b32 s11, s11
	v_mov_b32_e32 v2, s11
	s_waitcnt vmcnt(0)
	global_atomic_add_x2 v[0:1], v[2:3], off offset:8
.LBB6_2001:
	s_or_b32 exec_lo, exec_lo, s10
	s_waitcnt vmcnt(0)
	global_load_dwordx2 v[2:3], v[0:1], off offset:16
	s_waitcnt vmcnt(0)
	v_cmp_eq_u64_e32 vcc_lo, 0, v[2:3]
	s_cbranch_vccnz .LBB6_2003
; %bb.2002:
	global_load_dword v0, v[0:1], off offset:24
	v_mov_b32_e32 v1, 0
	s_waitcnt vmcnt(0)
	v_readfirstlane_b32 s10, v0
	s_waitcnt_vscnt null, 0x0
	global_store_dwordx2 v[2:3], v[0:1], off
	s_and_b32 m0, s10, 0x7fffff
	s_sendmsg sendmsg(MSG_INTERRUPT)
.LBB6_2003:
	s_or_b32 exec_lo, exec_lo, s5
	s_branch .LBB6_2007
.LBB6_2004:                             ;   in Loop: Header=BB6_2007 Depth=1
	s_or_b32 exec_lo, exec_lo, s5
	v_readfirstlane_b32 s5, v0
	s_cmp_eq_u32 s5, 0
	s_cbranch_scc1 .LBB6_2006
; %bb.2005:                             ;   in Loop: Header=BB6_2007 Depth=1
	s_sleep 1
	s_cbranch_execnz .LBB6_2007
	s_branch .LBB6_2009
.LBB6_2006:
	s_branch .LBB6_2009
.LBB6_2007:                             ; =>This Inner Loop Header: Depth=1
	v_mov_b32_e32 v0, 1
	s_and_saveexec_b32 s5, s4
	s_cbranch_execz .LBB6_2004
; %bb.2008:                             ;   in Loop: Header=BB6_2007 Depth=1
	global_load_dword v0, v[8:9], off offset:20 glc dlc
	s_waitcnt vmcnt(0)
	buffer_gl1_inv
	buffer_gl0_inv
	v_and_b32_e32 v0, 1, v0
	s_branch .LBB6_2004
.LBB6_2009:
	global_load_dwordx2 v[0:1], v[10:11], off
	s_and_saveexec_b32 s10, s4
	s_cbranch_execz .LBB6_2013
; %bb.2010:
	v_mov_b32_e32 v8, 0
	s_clause 0x2
	global_load_dwordx2 v[2:3], v8, s[6:7] offset:40
	global_load_dwordx2 v[11:12], v8, s[6:7] offset:24 glc dlc
	global_load_dwordx2 v[4:5], v8, s[6:7]
	s_waitcnt vmcnt(2)
	v_readfirstlane_b32 s12, v2
	v_readfirstlane_b32 s13, v3
	s_add_u32 s11, s12, 1
	s_addc_u32 s14, s13, 0
	s_add_u32 s4, s11, s8
	s_addc_u32 s5, s14, s9
	s_cmp_eq_u64 s[4:5], 0
	s_cselect_b32 s5, s14, s5
	s_cselect_b32 s4, s11, s4
	v_mov_b32_e32 v10, s5
	s_and_b64 s[8:9], s[4:5], s[12:13]
	v_mov_b32_e32 v9, s4
	s_mul_i32 s9, s9, 24
	s_mul_hi_u32 s11, s8, 24
	s_mul_i32 s8, s8, 24
	s_add_i32 s11, s11, s9
	s_waitcnt vmcnt(0)
	v_add_co_u32 v6, vcc_lo, v4, s8
	v_add_co_ci_u32_e64 v7, null, s11, v5, vcc_lo
	global_store_dwordx2 v[6:7], v[11:12], off
	s_waitcnt_vscnt null, 0x0
	global_atomic_cmpswap_x2 v[4:5], v8, v[9:12], s[6:7] offset:24 glc
	s_waitcnt vmcnt(0)
	v_cmp_ne_u64_e32 vcc_lo, v[4:5], v[11:12]
	s_and_b32 exec_lo, exec_lo, vcc_lo
	s_cbranch_execz .LBB6_2013
; %bb.2011:
	s_mov_b32 s8, 0
.LBB6_2012:                             ; =>This Inner Loop Header: Depth=1
	v_mov_b32_e32 v2, s4
	v_mov_b32_e32 v3, s5
	s_sleep 1
	global_store_dwordx2 v[6:7], v[4:5], off
	s_waitcnt_vscnt null, 0x0
	global_atomic_cmpswap_x2 v[2:3], v8, v[2:5], s[6:7] offset:24 glc
	s_waitcnt vmcnt(0)
	v_cmp_eq_u64_e32 vcc_lo, v[2:3], v[4:5]
	v_mov_b32_e32 v5, v3
	v_mov_b32_e32 v4, v2
	s_or_b32 s8, vcc_lo, s8
	s_andn2_b32 exec_lo, exec_lo, s8
	s_cbranch_execnz .LBB6_2012
.LBB6_2013:
	s_or_b32 exec_lo, exec_lo, s10
	s_getpc_b64 s[8:9]
	s_add_u32 s8, s8, .str.28@rel32@lo+4
	s_addc_u32 s9, s9, .str.28@rel32@hi+12
	s_cmp_lg_u64 s[8:9], 0
	s_cbranch_scc0 .LBB6_2099
; %bb.2014:
	s_waitcnt vmcnt(0)
	v_and_b32_e32 v6, -3, v0
	v_mov_b32_e32 v7, v1
	v_mov_b32_e32 v3, 0
	;; [unrolled: 1-line block ×4, first 2 shown]
	s_mov_b64 s[10:11], 35
	s_branch .LBB6_2016
.LBB6_2015:                             ;   in Loop: Header=BB6_2016 Depth=1
	s_or_b32 exec_lo, exec_lo, s16
	s_sub_u32 s10, s10, s12
	s_subb_u32 s11, s11, s13
	s_add_u32 s8, s8, s12
	s_addc_u32 s9, s9, s13
	s_cmp_lg_u64 s[10:11], 0
	s_cbranch_scc0 .LBB6_2098
.LBB6_2016:                             ; =>This Loop Header: Depth=1
                                        ;     Child Loop BB6_2019 Depth 2
                                        ;     Child Loop BB6_2027 Depth 2
                                        ;     Child Loop BB6_2035 Depth 2
                                        ;     Child Loop BB6_2043 Depth 2
                                        ;     Child Loop BB6_2051 Depth 2
                                        ;     Child Loop BB6_2059 Depth 2
                                        ;     Child Loop BB6_2067 Depth 2
                                        ;     Child Loop BB6_2075 Depth 2
                                        ;     Child Loop BB6_2083 Depth 2
                                        ;     Child Loop BB6_2092 Depth 2
                                        ;     Child Loop BB6_2097 Depth 2
	v_cmp_lt_u64_e64 s4, s[10:11], 56
	v_cmp_gt_u64_e64 s14, s[10:11], 7
	s_and_b32 s4, s4, exec_lo
	s_cselect_b32 s13, s11, 0
	s_cselect_b32 s12, s10, 56
	s_add_u32 s4, s8, 8
	s_addc_u32 s5, s9, 0
	s_and_b32 vcc_lo, exec_lo, s14
	s_cbranch_vccnz .LBB6_2021
; %bb.2017:                             ;   in Loop: Header=BB6_2016 Depth=1
	s_waitcnt vmcnt(0)
	v_mov_b32_e32 v8, 0
	v_mov_b32_e32 v9, 0
	s_cmp_eq_u64 s[10:11], 0
	s_cbranch_scc1 .LBB6_2020
; %bb.2018:                             ;   in Loop: Header=BB6_2016 Depth=1
	s_lshl_b64 s[4:5], s[12:13], 3
	s_mov_b64 s[14:15], 0
	s_mov_b64 s[16:17], s[8:9]
.LBB6_2019:                             ;   Parent Loop BB6_2016 Depth=1
                                        ; =>  This Inner Loop Header: Depth=2
	global_load_ubyte v2, v3, s[16:17]
	s_waitcnt vmcnt(0)
	v_and_b32_e32 v2, 0xffff, v2
	v_lshlrev_b64 v[10:11], s14, v[2:3]
	s_add_u32 s14, s14, 8
	s_addc_u32 s15, s15, 0
	s_add_u32 s16, s16, 1
	s_addc_u32 s17, s17, 0
	s_cmp_lg_u32 s4, s14
	v_or_b32_e32 v8, v10, v8
	v_or_b32_e32 v9, v11, v9
	s_cbranch_scc1 .LBB6_2019
.LBB6_2020:                             ;   in Loop: Header=BB6_2016 Depth=1
	s_mov_b32 s14, 0
	s_mov_b64 s[4:5], s[8:9]
	s_branch .LBB6_2022
.LBB6_2021:                             ;   in Loop: Header=BB6_2016 Depth=1
	s_mov_b32 s14, -1
.LBB6_2022:                             ;   in Loop: Header=BB6_2016 Depth=1
	s_andn2_b32 vcc_lo, exec_lo, s14
	s_mov_b32 s18, 0
	s_cbranch_vccnz .LBB6_2024
; %bb.2023:                             ;   in Loop: Header=BB6_2016 Depth=1
	global_load_dwordx2 v[8:9], v3, s[8:9]
	s_add_i32 s18, s12, -8
.LBB6_2024:                             ;   in Loop: Header=BB6_2016 Depth=1
	s_add_u32 s14, s4, 8
	s_addc_u32 s15, s5, 0
	s_cmp_gt_u32 s18, 7
	s_cbranch_scc1 .LBB6_2029
; %bb.2025:                             ;   in Loop: Header=BB6_2016 Depth=1
	v_mov_b32_e32 v10, 0
	v_mov_b32_e32 v11, 0
	s_cmp_eq_u32 s18, 0
	s_cbranch_scc1 .LBB6_2028
; %bb.2026:                             ;   in Loop: Header=BB6_2016 Depth=1
	s_mov_b64 s[14:15], 0
	s_mov_b64 s[16:17], 0
.LBB6_2027:                             ;   Parent Loop BB6_2016 Depth=1
                                        ; =>  This Inner Loop Header: Depth=2
	s_add_u32 s46, s4, s16
	s_addc_u32 s47, s5, s17
	s_add_u32 s16, s16, 1
	global_load_ubyte v2, v3, s[46:47]
	s_addc_u32 s17, s17, 0
	s_waitcnt vmcnt(0)
	v_and_b32_e32 v2, 0xffff, v2
	v_lshlrev_b64 v[12:13], s14, v[2:3]
	s_add_u32 s14, s14, 8
	s_addc_u32 s15, s15, 0
	s_cmp_lg_u32 s18, s16
	v_or_b32_e32 v10, v12, v10
	v_or_b32_e32 v11, v13, v11
	s_cbranch_scc1 .LBB6_2027
.LBB6_2028:                             ;   in Loop: Header=BB6_2016 Depth=1
	s_mov_b32 s16, 0
	s_mov_b64 s[14:15], s[4:5]
	s_branch .LBB6_2030
.LBB6_2029:                             ;   in Loop: Header=BB6_2016 Depth=1
	s_mov_b32 s16, -1
                                        ; implicit-def: $vgpr10_vgpr11
.LBB6_2030:                             ;   in Loop: Header=BB6_2016 Depth=1
	s_andn2_b32 vcc_lo, exec_lo, s16
	s_mov_b32 s19, 0
	s_cbranch_vccnz .LBB6_2032
; %bb.2031:                             ;   in Loop: Header=BB6_2016 Depth=1
	global_load_dwordx2 v[10:11], v3, s[4:5]
	s_add_i32 s19, s18, -8
.LBB6_2032:                             ;   in Loop: Header=BB6_2016 Depth=1
	s_add_u32 s4, s14, 8
	s_addc_u32 s5, s15, 0
	s_cmp_gt_u32 s19, 7
	s_cbranch_scc1 .LBB6_2037
; %bb.2033:                             ;   in Loop: Header=BB6_2016 Depth=1
	v_mov_b32_e32 v12, 0
	v_mov_b32_e32 v13, 0
	s_cmp_eq_u32 s19, 0
	s_cbranch_scc1 .LBB6_2036
; %bb.2034:                             ;   in Loop: Header=BB6_2016 Depth=1
	s_mov_b64 s[4:5], 0
	s_mov_b64 s[16:17], 0
.LBB6_2035:                             ;   Parent Loop BB6_2016 Depth=1
                                        ; =>  This Inner Loop Header: Depth=2
	s_add_u32 s46, s14, s16
	s_addc_u32 s47, s15, s17
	s_add_u32 s16, s16, 1
	global_load_ubyte v2, v3, s[46:47]
	s_addc_u32 s17, s17, 0
	s_waitcnt vmcnt(0)
	v_and_b32_e32 v2, 0xffff, v2
	v_lshlrev_b64 v[14:15], s4, v[2:3]
	s_add_u32 s4, s4, 8
	s_addc_u32 s5, s5, 0
	s_cmp_lg_u32 s19, s16
	v_or_b32_e32 v12, v14, v12
	v_or_b32_e32 v13, v15, v13
	s_cbranch_scc1 .LBB6_2035
.LBB6_2036:                             ;   in Loop: Header=BB6_2016 Depth=1
	s_mov_b32 s16, 0
	s_mov_b64 s[4:5], s[14:15]
	s_branch .LBB6_2038
.LBB6_2037:                             ;   in Loop: Header=BB6_2016 Depth=1
	s_mov_b32 s16, -1
.LBB6_2038:                             ;   in Loop: Header=BB6_2016 Depth=1
	s_andn2_b32 vcc_lo, exec_lo, s16
	s_mov_b32 s18, 0
	s_cbranch_vccnz .LBB6_2040
; %bb.2039:                             ;   in Loop: Header=BB6_2016 Depth=1
	global_load_dwordx2 v[12:13], v3, s[14:15]
	s_add_i32 s18, s19, -8
.LBB6_2040:                             ;   in Loop: Header=BB6_2016 Depth=1
	s_add_u32 s14, s4, 8
	s_addc_u32 s15, s5, 0
	s_cmp_gt_u32 s18, 7
	s_cbranch_scc1 .LBB6_2045
; %bb.2041:                             ;   in Loop: Header=BB6_2016 Depth=1
	v_mov_b32_e32 v14, 0
	v_mov_b32_e32 v15, 0
	s_cmp_eq_u32 s18, 0
	s_cbranch_scc1 .LBB6_2044
; %bb.2042:                             ;   in Loop: Header=BB6_2016 Depth=1
	s_mov_b64 s[14:15], 0
	s_mov_b64 s[16:17], 0
.LBB6_2043:                             ;   Parent Loop BB6_2016 Depth=1
                                        ; =>  This Inner Loop Header: Depth=2
	s_add_u32 s46, s4, s16
	s_addc_u32 s47, s5, s17
	s_add_u32 s16, s16, 1
	global_load_ubyte v2, v3, s[46:47]
	s_addc_u32 s17, s17, 0
	s_waitcnt vmcnt(0)
	v_and_b32_e32 v2, 0xffff, v2
	v_lshlrev_b64 v[16:17], s14, v[2:3]
	s_add_u32 s14, s14, 8
	s_addc_u32 s15, s15, 0
	s_cmp_lg_u32 s18, s16
	v_or_b32_e32 v14, v16, v14
	v_or_b32_e32 v15, v17, v15
	s_cbranch_scc1 .LBB6_2043
.LBB6_2044:                             ;   in Loop: Header=BB6_2016 Depth=1
	s_mov_b32 s16, 0
	s_mov_b64 s[14:15], s[4:5]
	s_branch .LBB6_2046
.LBB6_2045:                             ;   in Loop: Header=BB6_2016 Depth=1
	s_mov_b32 s16, -1
                                        ; implicit-def: $vgpr14_vgpr15
.LBB6_2046:                             ;   in Loop: Header=BB6_2016 Depth=1
	s_andn2_b32 vcc_lo, exec_lo, s16
	s_mov_b32 s19, 0
	s_cbranch_vccnz .LBB6_2048
; %bb.2047:                             ;   in Loop: Header=BB6_2016 Depth=1
	global_load_dwordx2 v[14:15], v3, s[4:5]
	s_add_i32 s19, s18, -8
.LBB6_2048:                             ;   in Loop: Header=BB6_2016 Depth=1
	s_add_u32 s4, s14, 8
	s_addc_u32 s5, s15, 0
	s_cmp_gt_u32 s19, 7
	s_cbranch_scc1 .LBB6_2053
; %bb.2049:                             ;   in Loop: Header=BB6_2016 Depth=1
	v_mov_b32_e32 v16, 0
	v_mov_b32_e32 v17, 0
	s_cmp_eq_u32 s19, 0
	s_cbranch_scc1 .LBB6_2052
; %bb.2050:                             ;   in Loop: Header=BB6_2016 Depth=1
	s_mov_b64 s[4:5], 0
	s_mov_b64 s[16:17], 0
.LBB6_2051:                             ;   Parent Loop BB6_2016 Depth=1
                                        ; =>  This Inner Loop Header: Depth=2
	s_add_u32 s46, s14, s16
	s_addc_u32 s47, s15, s17
	s_add_u32 s16, s16, 1
	global_load_ubyte v2, v3, s[46:47]
	s_addc_u32 s17, s17, 0
	s_waitcnt vmcnt(0)
	v_and_b32_e32 v2, 0xffff, v2
	v_lshlrev_b64 v[18:19], s4, v[2:3]
	s_add_u32 s4, s4, 8
	s_addc_u32 s5, s5, 0
	s_cmp_lg_u32 s19, s16
	v_or_b32_e32 v16, v18, v16
	v_or_b32_e32 v17, v19, v17
	s_cbranch_scc1 .LBB6_2051
.LBB6_2052:                             ;   in Loop: Header=BB6_2016 Depth=1
	s_mov_b32 s16, 0
	s_mov_b64 s[4:5], s[14:15]
	s_branch .LBB6_2054
.LBB6_2053:                             ;   in Loop: Header=BB6_2016 Depth=1
	s_mov_b32 s16, -1
.LBB6_2054:                             ;   in Loop: Header=BB6_2016 Depth=1
	s_andn2_b32 vcc_lo, exec_lo, s16
	s_mov_b32 s18, 0
	s_cbranch_vccnz .LBB6_2056
; %bb.2055:                             ;   in Loop: Header=BB6_2016 Depth=1
	global_load_dwordx2 v[16:17], v3, s[14:15]
	s_add_i32 s18, s19, -8
.LBB6_2056:                             ;   in Loop: Header=BB6_2016 Depth=1
	s_add_u32 s14, s4, 8
	s_addc_u32 s15, s5, 0
	s_cmp_gt_u32 s18, 7
	s_cbranch_scc1 .LBB6_2061
; %bb.2057:                             ;   in Loop: Header=BB6_2016 Depth=1
	v_mov_b32_e32 v18, 0
	v_mov_b32_e32 v19, 0
	s_cmp_eq_u32 s18, 0
	s_cbranch_scc1 .LBB6_2060
; %bb.2058:                             ;   in Loop: Header=BB6_2016 Depth=1
	s_mov_b64 s[14:15], 0
	s_mov_b64 s[16:17], 0
.LBB6_2059:                             ;   Parent Loop BB6_2016 Depth=1
                                        ; =>  This Inner Loop Header: Depth=2
	s_add_u32 s46, s4, s16
	s_addc_u32 s47, s5, s17
	s_add_u32 s16, s16, 1
	global_load_ubyte v2, v3, s[46:47]
	s_addc_u32 s17, s17, 0
	s_waitcnt vmcnt(0)
	v_and_b32_e32 v2, 0xffff, v2
	v_lshlrev_b64 v[20:21], s14, v[2:3]
	s_add_u32 s14, s14, 8
	s_addc_u32 s15, s15, 0
	s_cmp_lg_u32 s18, s16
	v_or_b32_e32 v18, v20, v18
	v_or_b32_e32 v19, v21, v19
	s_cbranch_scc1 .LBB6_2059
.LBB6_2060:                             ;   in Loop: Header=BB6_2016 Depth=1
	s_mov_b32 s16, 0
	s_mov_b64 s[14:15], s[4:5]
	s_branch .LBB6_2062
.LBB6_2061:                             ;   in Loop: Header=BB6_2016 Depth=1
	s_mov_b32 s16, -1
                                        ; implicit-def: $vgpr18_vgpr19
.LBB6_2062:                             ;   in Loop: Header=BB6_2016 Depth=1
	s_andn2_b32 vcc_lo, exec_lo, s16
	s_mov_b32 s19, 0
	s_cbranch_vccnz .LBB6_2064
; %bb.2063:                             ;   in Loop: Header=BB6_2016 Depth=1
	global_load_dwordx2 v[18:19], v3, s[4:5]
	s_add_i32 s19, s18, -8
.LBB6_2064:                             ;   in Loop: Header=BB6_2016 Depth=1
	s_cmp_gt_u32 s19, 7
	s_cbranch_scc1 .LBB6_2069
; %bb.2065:                             ;   in Loop: Header=BB6_2016 Depth=1
	v_mov_b32_e32 v20, 0
	v_mov_b32_e32 v21, 0
	s_cmp_eq_u32 s19, 0
	s_cbranch_scc1 .LBB6_2068
; %bb.2066:                             ;   in Loop: Header=BB6_2016 Depth=1
	s_mov_b64 s[4:5], 0
	s_mov_b64 s[16:17], s[14:15]
.LBB6_2067:                             ;   Parent Loop BB6_2016 Depth=1
                                        ; =>  This Inner Loop Header: Depth=2
	global_load_ubyte v2, v3, s[16:17]
	s_add_i32 s19, s19, -1
	s_waitcnt vmcnt(0)
	v_and_b32_e32 v2, 0xffff, v2
	v_lshlrev_b64 v[22:23], s4, v[2:3]
	s_add_u32 s4, s4, 8
	s_addc_u32 s5, s5, 0
	s_add_u32 s16, s16, 1
	s_addc_u32 s17, s17, 0
	s_cmp_lg_u32 s19, 0
	v_or_b32_e32 v20, v22, v20
	v_or_b32_e32 v21, v23, v21
	s_cbranch_scc1 .LBB6_2067
.LBB6_2068:                             ;   in Loop: Header=BB6_2016 Depth=1
	s_mov_b32 s4, 0
	s_branch .LBB6_2070
.LBB6_2069:                             ;   in Loop: Header=BB6_2016 Depth=1
	s_mov_b32 s4, -1
.LBB6_2070:                             ;   in Loop: Header=BB6_2016 Depth=1
	s_andn2_b32 vcc_lo, exec_lo, s4
	s_cbranch_vccnz .LBB6_2072
; %bb.2071:                             ;   in Loop: Header=BB6_2016 Depth=1
	global_load_dwordx2 v[20:21], v3, s[14:15]
.LBB6_2072:                             ;   in Loop: Header=BB6_2016 Depth=1
	v_readfirstlane_b32 s4, v29
	v_mov_b32_e32 v26, 0
	v_mov_b32_e32 v27, 0
	v_cmp_eq_u32_e64 s4, s4, v29
	s_and_saveexec_b32 s5, s4
	s_cbranch_execz .LBB6_2078
; %bb.2073:                             ;   in Loop: Header=BB6_2016 Depth=1
	global_load_dwordx2 v[24:25], v3, s[6:7] offset:24 glc dlc
	s_waitcnt vmcnt(0)
	buffer_gl1_inv
	buffer_gl0_inv
	s_clause 0x1
	global_load_dwordx2 v[22:23], v3, s[6:7] offset:40
	global_load_dwordx2 v[26:27], v3, s[6:7]
	s_mov_b32 s14, exec_lo
	s_waitcnt vmcnt(1)
	v_and_b32_e32 v2, v23, v25
	v_and_b32_e32 v22, v22, v24
	v_mul_lo_u32 v2, v2, 24
	v_mul_hi_u32 v23, v22, 24
	v_mul_lo_u32 v22, v22, 24
	v_add_nc_u32_e32 v2, v23, v2
	s_waitcnt vmcnt(0)
	v_add_co_u32 v22, vcc_lo, v26, v22
	v_add_co_ci_u32_e64 v23, null, v27, v2, vcc_lo
	global_load_dwordx2 v[22:23], v[22:23], off glc dlc
	s_waitcnt vmcnt(0)
	global_atomic_cmpswap_x2 v[26:27], v3, v[22:25], s[6:7] offset:24 glc
	s_waitcnt vmcnt(0)
	buffer_gl1_inv
	buffer_gl0_inv
	v_cmpx_ne_u64_e64 v[26:27], v[24:25]
	s_cbranch_execz .LBB6_2077
; %bb.2074:                             ;   in Loop: Header=BB6_2016 Depth=1
	s_mov_b32 s15, 0
.LBB6_2075:                             ;   Parent Loop BB6_2016 Depth=1
                                        ; =>  This Inner Loop Header: Depth=2
	s_sleep 1
	s_clause 0x1
	global_load_dwordx2 v[22:23], v3, s[6:7] offset:40
	global_load_dwordx2 v[30:31], v3, s[6:7]
	v_mov_b32_e32 v24, v26
	v_mov_b32_e32 v25, v27
	s_waitcnt vmcnt(1)
	v_and_b32_e32 v2, v22, v24
	v_and_b32_e32 v22, v23, v25
	s_waitcnt vmcnt(0)
	v_mad_u64_u32 v[26:27], null, v2, 24, v[30:31]
	v_mov_b32_e32 v2, v27
	v_mad_u64_u32 v[22:23], null, v22, 24, v[2:3]
	v_mov_b32_e32 v27, v22
	global_load_dwordx2 v[22:23], v[26:27], off glc dlc
	s_waitcnt vmcnt(0)
	global_atomic_cmpswap_x2 v[26:27], v3, v[22:25], s[6:7] offset:24 glc
	s_waitcnt vmcnt(0)
	buffer_gl1_inv
	buffer_gl0_inv
	v_cmp_eq_u64_e32 vcc_lo, v[26:27], v[24:25]
	s_or_b32 s15, vcc_lo, s15
	s_andn2_b32 exec_lo, exec_lo, s15
	s_cbranch_execnz .LBB6_2075
; %bb.2076:                             ;   in Loop: Header=BB6_2016 Depth=1
	s_or_b32 exec_lo, exec_lo, s15
.LBB6_2077:                             ;   in Loop: Header=BB6_2016 Depth=1
	s_or_b32 exec_lo, exec_lo, s14
.LBB6_2078:                             ;   in Loop: Header=BB6_2016 Depth=1
	s_or_b32 exec_lo, exec_lo, s5
	s_clause 0x1
	global_load_dwordx2 v[30:31], v3, s[6:7] offset:40
	global_load_dwordx4 v[22:25], v3, s[6:7]
	v_readfirstlane_b32 s15, v27
	v_readfirstlane_b32 s14, v26
	s_mov_b32 s5, exec_lo
	s_waitcnt vmcnt(1)
	v_readfirstlane_b32 s16, v30
	v_readfirstlane_b32 s17, v31
	s_and_b64 s[16:17], s[16:17], s[14:15]
	s_mul_i32 s18, s17, 24
	s_mul_hi_u32 s19, s16, 24
	s_mul_i32 s20, s16, 24
	s_add_i32 s19, s19, s18
	s_waitcnt vmcnt(0)
	v_add_co_u32 v26, vcc_lo, v22, s20
	v_add_co_ci_u32_e64 v27, null, s19, v23, vcc_lo
	s_and_saveexec_b32 s18, s4
	s_cbranch_execz .LBB6_2080
; %bb.2079:                             ;   in Loop: Header=BB6_2016 Depth=1
	v_mov_b32_e32 v2, s5
	global_store_dwordx4 v[26:27], v[2:5], off offset:8
.LBB6_2080:                             ;   in Loop: Header=BB6_2016 Depth=1
	s_or_b32 exec_lo, exec_lo, s18
	v_cmp_gt_u64_e64 s5, s[10:11], 56
	s_lshl_b64 s[16:17], s[16:17], 12
	v_and_b32_e32 v2, 0xffffff1f, v6
	v_add_co_u32 v24, vcc_lo, v24, s16
	v_add_co_ci_u32_e64 v25, null, s17, v25, vcc_lo
	s_and_b32 s5, s5, exec_lo
	s_cselect_b32 s5, 0, 2
	s_lshl_b32 s18, s12, 2
	v_or_b32_e32 v2, s5, v2
	v_readfirstlane_b32 s16, v24
	v_readfirstlane_b32 s17, v25
	s_add_i32 s18, s18, 28
	v_and_or_b32 v6, 0x1e0, s18, v2
	global_store_dwordx4 v28, v[10:13], s[16:17] offset:16
	global_store_dwordx4 v28, v[14:17], s[16:17] offset:32
	global_store_dwordx4 v28, v[6:9], s[16:17]
	global_store_dwordx4 v28, v[18:21], s[16:17] offset:48
	s_and_saveexec_b32 s5, s4
	s_cbranch_execz .LBB6_2088
; %bb.2081:                             ;   in Loop: Header=BB6_2016 Depth=1
	s_clause 0x1
	global_load_dwordx2 v[14:15], v3, s[6:7] offset:32 glc dlc
	global_load_dwordx2 v[6:7], v3, s[6:7] offset:40
	v_mov_b32_e32 v12, s14
	v_mov_b32_e32 v13, s15
	s_waitcnt vmcnt(0)
	v_readfirstlane_b32 s16, v6
	v_readfirstlane_b32 s17, v7
	s_and_b64 s[16:17], s[16:17], s[14:15]
	s_mul_i32 s17, s17, 24
	s_mul_hi_u32 s18, s16, 24
	s_mul_i32 s16, s16, 24
	s_add_i32 s18, s18, s17
	v_add_co_u32 v10, vcc_lo, v22, s16
	v_add_co_ci_u32_e64 v11, null, s18, v23, vcc_lo
	s_mov_b32 s16, exec_lo
	global_store_dwordx2 v[10:11], v[14:15], off
	s_waitcnt_vscnt null, 0x0
	global_atomic_cmpswap_x2 v[8:9], v3, v[12:15], s[6:7] offset:32 glc
	s_waitcnt vmcnt(0)
	v_cmpx_ne_u64_e64 v[8:9], v[14:15]
	s_cbranch_execz .LBB6_2084
; %bb.2082:                             ;   in Loop: Header=BB6_2016 Depth=1
	s_mov_b32 s17, 0
.LBB6_2083:                             ;   Parent Loop BB6_2016 Depth=1
                                        ; =>  This Inner Loop Header: Depth=2
	v_mov_b32_e32 v6, s14
	v_mov_b32_e32 v7, s15
	s_sleep 1
	global_store_dwordx2 v[10:11], v[8:9], off
	s_waitcnt_vscnt null, 0x0
	global_atomic_cmpswap_x2 v[6:7], v3, v[6:9], s[6:7] offset:32 glc
	s_waitcnt vmcnt(0)
	v_cmp_eq_u64_e32 vcc_lo, v[6:7], v[8:9]
	v_mov_b32_e32 v9, v7
	v_mov_b32_e32 v8, v6
	s_or_b32 s17, vcc_lo, s17
	s_andn2_b32 exec_lo, exec_lo, s17
	s_cbranch_execnz .LBB6_2083
.LBB6_2084:                             ;   in Loop: Header=BB6_2016 Depth=1
	s_or_b32 exec_lo, exec_lo, s16
	global_load_dwordx2 v[6:7], v3, s[6:7] offset:16
	s_mov_b32 s17, exec_lo
	s_mov_b32 s16, exec_lo
	v_mbcnt_lo_u32_b32 v2, s17, 0
	v_cmpx_eq_u32_e32 0, v2
	s_cbranch_execz .LBB6_2086
; %bb.2085:                             ;   in Loop: Header=BB6_2016 Depth=1
	s_bcnt1_i32_b32 s17, s17
	v_mov_b32_e32 v2, s17
	s_waitcnt vmcnt(0)
	global_atomic_add_x2 v[6:7], v[2:3], off offset:8
.LBB6_2086:                             ;   in Loop: Header=BB6_2016 Depth=1
	s_or_b32 exec_lo, exec_lo, s16
	s_waitcnt vmcnt(0)
	global_load_dwordx2 v[8:9], v[6:7], off offset:16
	s_waitcnt vmcnt(0)
	v_cmp_eq_u64_e32 vcc_lo, 0, v[8:9]
	s_cbranch_vccnz .LBB6_2088
; %bb.2087:                             ;   in Loop: Header=BB6_2016 Depth=1
	global_load_dword v2, v[6:7], off offset:24
	s_waitcnt vmcnt(0)
	v_readfirstlane_b32 s16, v2
	s_waitcnt_vscnt null, 0x0
	global_store_dwordx2 v[8:9], v[2:3], off
	s_and_b32 m0, s16, 0x7fffff
	s_sendmsg sendmsg(MSG_INTERRUPT)
.LBB6_2088:                             ;   in Loop: Header=BB6_2016 Depth=1
	s_or_b32 exec_lo, exec_lo, s5
	v_add_co_u32 v6, vcc_lo, v24, v28
	v_add_co_ci_u32_e64 v7, null, 0, v25, vcc_lo
	s_branch .LBB6_2092
	.p2align	6
.LBB6_2089:                             ;   in Loop: Header=BB6_2092 Depth=2
	s_or_b32 exec_lo, exec_lo, s5
	v_readfirstlane_b32 s5, v2
	s_cmp_eq_u32 s5, 0
	s_cbranch_scc1 .LBB6_2091
; %bb.2090:                             ;   in Loop: Header=BB6_2092 Depth=2
	s_sleep 1
	s_cbranch_execnz .LBB6_2092
	s_branch .LBB6_2094
.LBB6_2091:                             ;   in Loop: Header=BB6_2016 Depth=1
	s_branch .LBB6_2094
.LBB6_2092:                             ;   Parent Loop BB6_2016 Depth=1
                                        ; =>  This Inner Loop Header: Depth=2
	v_mov_b32_e32 v2, 1
	s_and_saveexec_b32 s5, s4
	s_cbranch_execz .LBB6_2089
; %bb.2093:                             ;   in Loop: Header=BB6_2092 Depth=2
	global_load_dword v2, v[26:27], off offset:20 glc dlc
	s_waitcnt vmcnt(0)
	buffer_gl1_inv
	buffer_gl0_inv
	v_and_b32_e32 v2, 1, v2
	s_branch .LBB6_2089
.LBB6_2094:                             ;   in Loop: Header=BB6_2016 Depth=1
	global_load_dwordx4 v[6:9], v[6:7], off
	s_and_saveexec_b32 s16, s4
	s_cbranch_execz .LBB6_2015
; %bb.2095:                             ;   in Loop: Header=BB6_2016 Depth=1
	s_clause 0x2
	global_load_dwordx2 v[8:9], v3, s[6:7] offset:40
	global_load_dwordx2 v[16:17], v3, s[6:7] offset:24 glc dlc
	global_load_dwordx2 v[10:11], v3, s[6:7]
	s_waitcnt vmcnt(2)
	v_readfirstlane_b32 s18, v8
	v_readfirstlane_b32 s19, v9
	s_add_u32 s17, s18, 1
	s_addc_u32 s20, s19, 0
	s_add_u32 s4, s17, s14
	s_addc_u32 s5, s20, s15
	s_cmp_eq_u64 s[4:5], 0
	s_cselect_b32 s5, s20, s5
	s_cselect_b32 s4, s17, s4
	v_mov_b32_e32 v15, s5
	s_and_b64 s[14:15], s[4:5], s[18:19]
	v_mov_b32_e32 v14, s4
	s_mul_i32 s15, s15, 24
	s_mul_hi_u32 s17, s14, 24
	s_mul_i32 s14, s14, 24
	s_add_i32 s17, s17, s15
	s_waitcnt vmcnt(0)
	v_add_co_u32 v12, vcc_lo, v10, s14
	v_add_co_ci_u32_e64 v13, null, s17, v11, vcc_lo
	global_store_dwordx2 v[12:13], v[16:17], off
	s_waitcnt_vscnt null, 0x0
	global_atomic_cmpswap_x2 v[10:11], v3, v[14:17], s[6:7] offset:24 glc
	s_waitcnt vmcnt(0)
	v_cmp_ne_u64_e32 vcc_lo, v[10:11], v[16:17]
	s_and_b32 exec_lo, exec_lo, vcc_lo
	s_cbranch_execz .LBB6_2015
; %bb.2096:                             ;   in Loop: Header=BB6_2016 Depth=1
	s_mov_b32 s14, 0
.LBB6_2097:                             ;   Parent Loop BB6_2016 Depth=1
                                        ; =>  This Inner Loop Header: Depth=2
	v_mov_b32_e32 v8, s4
	v_mov_b32_e32 v9, s5
	s_sleep 1
	global_store_dwordx2 v[12:13], v[10:11], off
	s_waitcnt_vscnt null, 0x0
	global_atomic_cmpswap_x2 v[8:9], v3, v[8:11], s[6:7] offset:24 glc
	s_waitcnt vmcnt(0)
	v_cmp_eq_u64_e32 vcc_lo, v[8:9], v[10:11]
	v_mov_b32_e32 v11, v9
	v_mov_b32_e32 v10, v8
	s_or_b32 s14, vcc_lo, s14
	s_andn2_b32 exec_lo, exec_lo, s14
	s_cbranch_execnz .LBB6_2097
	s_branch .LBB6_2015
.LBB6_2098:
	s_mov_b32 s4, 0
	s_branch .LBB6_2100
.LBB6_2099:
	s_mov_b32 s4, -1
.LBB6_2100:
	s_and_b32 vcc_lo, exec_lo, s4
	s_cbranch_vccz .LBB6_2128
; %bb.2101:
	v_readfirstlane_b32 s4, v29
	s_waitcnt vmcnt(0)
	v_mov_b32_e32 v8, 0
	v_mov_b32_e32 v9, 0
	v_cmp_eq_u32_e64 s4, s4, v29
	s_and_saveexec_b32 s5, s4
	s_cbranch_execz .LBB6_2107
; %bb.2102:
	v_mov_b32_e32 v2, 0
	s_mov_b32 s8, exec_lo
	global_load_dwordx2 v[5:6], v2, s[6:7] offset:24 glc dlc
	s_waitcnt vmcnt(0)
	buffer_gl1_inv
	buffer_gl0_inv
	s_clause 0x1
	global_load_dwordx2 v[3:4], v2, s[6:7] offset:40
	global_load_dwordx2 v[7:8], v2, s[6:7]
	s_waitcnt vmcnt(1)
	v_and_b32_e32 v4, v4, v6
	v_and_b32_e32 v3, v3, v5
	v_mul_lo_u32 v4, v4, 24
	v_mul_hi_u32 v9, v3, 24
	v_mul_lo_u32 v3, v3, 24
	v_add_nc_u32_e32 v4, v9, v4
	s_waitcnt vmcnt(0)
	v_add_co_u32 v3, vcc_lo, v7, v3
	v_add_co_ci_u32_e64 v4, null, v8, v4, vcc_lo
	global_load_dwordx2 v[3:4], v[3:4], off glc dlc
	s_waitcnt vmcnt(0)
	global_atomic_cmpswap_x2 v[8:9], v2, v[3:6], s[6:7] offset:24 glc
	s_waitcnt vmcnt(0)
	buffer_gl1_inv
	buffer_gl0_inv
	v_cmpx_ne_u64_e64 v[8:9], v[5:6]
	s_cbranch_execz .LBB6_2106
; %bb.2103:
	s_mov_b32 s9, 0
.LBB6_2104:                             ; =>This Inner Loop Header: Depth=1
	s_sleep 1
	s_clause 0x1
	global_load_dwordx2 v[3:4], v2, s[6:7] offset:40
	global_load_dwordx2 v[10:11], v2, s[6:7]
	v_mov_b32_e32 v5, v8
	v_mov_b32_e32 v6, v9
	s_waitcnt vmcnt(1)
	v_and_b32_e32 v3, v3, v5
	v_and_b32_e32 v4, v4, v6
	s_waitcnt vmcnt(0)
	v_mad_u64_u32 v[7:8], null, v3, 24, v[10:11]
	v_mov_b32_e32 v3, v8
	v_mad_u64_u32 v[3:4], null, v4, 24, v[3:4]
	v_mov_b32_e32 v8, v3
	global_load_dwordx2 v[3:4], v[7:8], off glc dlc
	s_waitcnt vmcnt(0)
	global_atomic_cmpswap_x2 v[8:9], v2, v[3:6], s[6:7] offset:24 glc
	s_waitcnt vmcnt(0)
	buffer_gl1_inv
	buffer_gl0_inv
	v_cmp_eq_u64_e32 vcc_lo, v[8:9], v[5:6]
	s_or_b32 s9, vcc_lo, s9
	s_andn2_b32 exec_lo, exec_lo, s9
	s_cbranch_execnz .LBB6_2104
; %bb.2105:
	s_or_b32 exec_lo, exec_lo, s9
.LBB6_2106:
	s_or_b32 exec_lo, exec_lo, s8
.LBB6_2107:
	s_or_b32 exec_lo, exec_lo, s5
	v_mov_b32_e32 v2, 0
	v_readfirstlane_b32 s9, v9
	v_readfirstlane_b32 s8, v8
	s_mov_b32 s5, exec_lo
	s_clause 0x1
	global_load_dwordx2 v[10:11], v2, s[6:7] offset:40
	global_load_dwordx4 v[4:7], v2, s[6:7]
	s_waitcnt vmcnt(1)
	v_readfirstlane_b32 s10, v10
	v_readfirstlane_b32 s11, v11
	s_and_b64 s[10:11], s[10:11], s[8:9]
	s_mul_i32 s12, s11, 24
	s_mul_hi_u32 s13, s10, 24
	s_mul_i32 s14, s10, 24
	s_add_i32 s13, s13, s12
	s_waitcnt vmcnt(0)
	v_add_co_u32 v8, vcc_lo, v4, s14
	v_add_co_ci_u32_e64 v9, null, s13, v5, vcc_lo
	s_and_saveexec_b32 s12, s4
	s_cbranch_execz .LBB6_2109
; %bb.2108:
	v_mov_b32_e32 v10, s5
	v_mov_b32_e32 v11, v2
	;; [unrolled: 1-line block ×4, first 2 shown]
	global_store_dwordx4 v[8:9], v[10:13], off offset:8
.LBB6_2109:
	s_or_b32 exec_lo, exec_lo, s12
	s_lshl_b64 s[10:11], s[10:11], 12
	s_mov_b32 s12, 0
	v_add_co_u32 v6, vcc_lo, v6, s10
	v_add_co_ci_u32_e64 v7, null, s11, v7, vcc_lo
	s_mov_b32 s13, s12
	s_mov_b32 s14, s12
	;; [unrolled: 1-line block ×3, first 2 shown]
	v_and_or_b32 v0, 0xffffff1d, v0, 34
	v_mov_b32_e32 v3, v2
	v_readfirstlane_b32 s10, v6
	v_readfirstlane_b32 s11, v7
	v_mov_b32_e32 v10, s12
	v_mov_b32_e32 v11, s13
	;; [unrolled: 1-line block ×4, first 2 shown]
	global_store_dwordx4 v28, v[0:3], s[10:11]
	global_store_dwordx4 v28, v[10:13], s[10:11] offset:16
	global_store_dwordx4 v28, v[10:13], s[10:11] offset:32
	;; [unrolled: 1-line block ×3, first 2 shown]
	s_and_saveexec_b32 s5, s4
	s_cbranch_execz .LBB6_2117
; %bb.2110:
	v_mov_b32_e32 v6, 0
	v_mov_b32_e32 v10, s8
	;; [unrolled: 1-line block ×3, first 2 shown]
	s_clause 0x1
	global_load_dwordx2 v[12:13], v6, s[6:7] offset:32 glc dlc
	global_load_dwordx2 v[0:1], v6, s[6:7] offset:40
	s_waitcnt vmcnt(0)
	v_readfirstlane_b32 s10, v0
	v_readfirstlane_b32 s11, v1
	s_and_b64 s[10:11], s[10:11], s[8:9]
	s_mul_i32 s11, s11, 24
	s_mul_hi_u32 s12, s10, 24
	s_mul_i32 s10, s10, 24
	s_add_i32 s12, s12, s11
	v_add_co_u32 v4, vcc_lo, v4, s10
	v_add_co_ci_u32_e64 v5, null, s12, v5, vcc_lo
	s_mov_b32 s10, exec_lo
	global_store_dwordx2 v[4:5], v[12:13], off
	s_waitcnt_vscnt null, 0x0
	global_atomic_cmpswap_x2 v[2:3], v6, v[10:13], s[6:7] offset:32 glc
	s_waitcnt vmcnt(0)
	v_cmpx_ne_u64_e64 v[2:3], v[12:13]
	s_cbranch_execz .LBB6_2113
; %bb.2111:
	s_mov_b32 s11, 0
.LBB6_2112:                             ; =>This Inner Loop Header: Depth=1
	v_mov_b32_e32 v0, s8
	v_mov_b32_e32 v1, s9
	s_sleep 1
	global_store_dwordx2 v[4:5], v[2:3], off
	s_waitcnt_vscnt null, 0x0
	global_atomic_cmpswap_x2 v[0:1], v6, v[0:3], s[6:7] offset:32 glc
	s_waitcnt vmcnt(0)
	v_cmp_eq_u64_e32 vcc_lo, v[0:1], v[2:3]
	v_mov_b32_e32 v3, v1
	v_mov_b32_e32 v2, v0
	s_or_b32 s11, vcc_lo, s11
	s_andn2_b32 exec_lo, exec_lo, s11
	s_cbranch_execnz .LBB6_2112
.LBB6_2113:
	s_or_b32 exec_lo, exec_lo, s10
	v_mov_b32_e32 v3, 0
	s_mov_b32 s11, exec_lo
	s_mov_b32 s10, exec_lo
	v_mbcnt_lo_u32_b32 v2, s11, 0
	global_load_dwordx2 v[0:1], v3, s[6:7] offset:16
	v_cmpx_eq_u32_e32 0, v2
	s_cbranch_execz .LBB6_2115
; %bb.2114:
	s_bcnt1_i32_b32 s11, s11
	v_mov_b32_e32 v2, s11
	s_waitcnt vmcnt(0)
	global_atomic_add_x2 v[0:1], v[2:3], off offset:8
.LBB6_2115:
	s_or_b32 exec_lo, exec_lo, s10
	s_waitcnt vmcnt(0)
	global_load_dwordx2 v[2:3], v[0:1], off offset:16
	s_waitcnt vmcnt(0)
	v_cmp_eq_u64_e32 vcc_lo, 0, v[2:3]
	s_cbranch_vccnz .LBB6_2117
; %bb.2116:
	global_load_dword v0, v[0:1], off offset:24
	v_mov_b32_e32 v1, 0
	s_waitcnt vmcnt(0)
	v_readfirstlane_b32 s10, v0
	s_waitcnt_vscnt null, 0x0
	global_store_dwordx2 v[2:3], v[0:1], off
	s_and_b32 m0, s10, 0x7fffff
	s_sendmsg sendmsg(MSG_INTERRUPT)
.LBB6_2117:
	s_or_b32 exec_lo, exec_lo, s5
	s_branch .LBB6_2121
.LBB6_2118:                             ;   in Loop: Header=BB6_2121 Depth=1
	s_or_b32 exec_lo, exec_lo, s5
	v_readfirstlane_b32 s5, v0
	s_cmp_eq_u32 s5, 0
	s_cbranch_scc1 .LBB6_2120
; %bb.2119:                             ;   in Loop: Header=BB6_2121 Depth=1
	s_sleep 1
	s_cbranch_execnz .LBB6_2121
	s_branch .LBB6_2123
.LBB6_2120:
	s_branch .LBB6_2123
.LBB6_2121:                             ; =>This Inner Loop Header: Depth=1
	v_mov_b32_e32 v0, 1
	s_and_saveexec_b32 s5, s4
	s_cbranch_execz .LBB6_2118
; %bb.2122:                             ;   in Loop: Header=BB6_2121 Depth=1
	global_load_dword v0, v[8:9], off offset:20 glc dlc
	s_waitcnt vmcnt(0)
	buffer_gl1_inv
	buffer_gl0_inv
	v_and_b32_e32 v0, 1, v0
	s_branch .LBB6_2118
.LBB6_2123:
	s_and_saveexec_b32 s10, s4
	s_cbranch_execz .LBB6_2127
; %bb.2124:
	v_mov_b32_e32 v6, 0
	s_clause 0x2
	global_load_dwordx2 v[0:1], v6, s[6:7] offset:40
	global_load_dwordx2 v[9:10], v6, s[6:7] offset:24 glc dlc
	global_load_dwordx2 v[2:3], v6, s[6:7]
	s_waitcnt vmcnt(2)
	v_readfirstlane_b32 s12, v0
	v_readfirstlane_b32 s13, v1
	s_add_u32 s11, s12, 1
	s_addc_u32 s14, s13, 0
	s_add_u32 s4, s11, s8
	s_addc_u32 s5, s14, s9
	s_cmp_eq_u64 s[4:5], 0
	s_cselect_b32 s5, s14, s5
	s_cselect_b32 s4, s11, s4
	v_mov_b32_e32 v8, s5
	s_and_b64 s[8:9], s[4:5], s[12:13]
	v_mov_b32_e32 v7, s4
	s_mul_i32 s9, s9, 24
	s_mul_hi_u32 s11, s8, 24
	s_mul_i32 s8, s8, 24
	s_add_i32 s11, s11, s9
	s_waitcnt vmcnt(0)
	v_add_co_u32 v4, vcc_lo, v2, s8
	v_add_co_ci_u32_e64 v5, null, s11, v3, vcc_lo
	global_store_dwordx2 v[4:5], v[9:10], off
	s_waitcnt_vscnt null, 0x0
	global_atomic_cmpswap_x2 v[2:3], v6, v[7:10], s[6:7] offset:24 glc
	s_waitcnt vmcnt(0)
	v_cmp_ne_u64_e32 vcc_lo, v[2:3], v[9:10]
	s_and_b32 exec_lo, exec_lo, vcc_lo
	s_cbranch_execz .LBB6_2127
; %bb.2125:
	s_mov_b32 s8, 0
.LBB6_2126:                             ; =>This Inner Loop Header: Depth=1
	v_mov_b32_e32 v0, s4
	v_mov_b32_e32 v1, s5
	s_sleep 1
	global_store_dwordx2 v[4:5], v[2:3], off
	s_waitcnt_vscnt null, 0x0
	global_atomic_cmpswap_x2 v[0:1], v6, v[0:3], s[6:7] offset:24 glc
	s_waitcnt vmcnt(0)
	v_cmp_eq_u64_e32 vcc_lo, v[0:1], v[2:3]
	v_mov_b32_e32 v3, v1
	v_mov_b32_e32 v2, v0
	s_or_b32 s8, vcc_lo, s8
	s_andn2_b32 exec_lo, exec_lo, s8
	s_cbranch_execnz .LBB6_2126
.LBB6_2127:
	s_or_b32 exec_lo, exec_lo, s10
.LBB6_2128:
	s_getpc_b64 s[4:5]
	s_add_u32 s4, s4, .str.29@rel32@lo+4
	s_addc_u32 s5, s5, .str.29@rel32@hi+12
	s_getpc_b64 s[6:7]
	s_add_u32 s6, s6, .str.19@rel32@lo+4
	s_addc_u32 s7, s7, .str.19@rel32@hi+12
	s_getpc_b64 s[8:9]
	s_add_u32 s8, s8, __PRETTY_FUNCTION__._ZN7VecsMemIjLi8192EE5fetchEi@rel32@lo+4
	s_addc_u32 s9, s9, __PRETTY_FUNCTION__._ZN7VecsMemIjLi8192EE5fetchEi@rel32@hi+12
	s_waitcnt vmcnt(0)
	v_mov_b32_e32 v0, s4
	v_mov_b32_e32 v1, s5
	;; [unrolled: 1-line block ×7, first 2 shown]
	s_getpc_b64 s[10:11]
	s_add_u32 s10, s10, __assert_fail@rel32@lo+4
	s_addc_u32 s11, s11, __assert_fail@rel32@hi+12
	s_mov_b64 s[8:9], s[52:53]
	s_swappc_b64 s[30:31], s[10:11]
	s_or_b32 s4, s67, exec_lo
.LBB6_2129:
	s_or_b32 exec_lo, exec_lo, s43
	s_andn2_b32 s5, s67, exec_lo
	s_and_b32 s4, s4, exec_lo
	s_orn2_b32 s6, s21, exec_lo
	s_or_b32 s69, s5, s4
.LBB6_2130:
	s_or_b32 exec_lo, exec_lo, s42
	s_mov_b32 s4, 0
	s_mov_b32 s5, s28
                                        ; implicit-def: $vgpr41
	s_and_saveexec_b32 s70, s6
	s_cbranch_execz .LBB6_2351
; %bb.2131:
	s_mov_b32 s6, 0
	s_mov_b32 s4, -1
	s_mov_b32 s5, exec_lo
	buffer_store_dword v70, off, s[0:3], s33 offset:100
	buffer_store_dword v69, off, s[0:3], s33 offset:96
	v_cmpx_lt_i32_e32 0, v68
	s_cbranch_execz .LBB6_2139
; %bb.2132:
	v_not_b32_e32 v4, v71
	v_mov_b32_e32 v0, 0
	v_mov_b32_e32 v5, 0
	s_mov_b32 s7, 0
	s_inst_prefetch 0x1
	s_branch .LBB6_2134
.LBB6_2133:                             ;   in Loop: Header=BB6_2134 Depth=1
	s_or_b32 exec_lo, exec_lo, s4
	v_ashrrev_i32_e32 v1, 31, v0
	s_add_i32 s7, s7, 1
	v_add_co_u32 v54, s4, v54, 4
	v_add_co_ci_u32_e64 v55, null, 0, v55, s4
	v_lshlrev_b64 v[0:1], 2, v[0:1]
	v_add_co_u32 v0, vcc_lo, v2, v0
	v_add_co_ci_u32_e64 v1, null, v3, v1, vcc_lo
	flat_store_dword v[0:1], v7
	flat_load_dword v0, v[52:53] offset:4
	s_waitcnt vmcnt(0) lgkmcnt(0)
	v_cmp_ge_i32_e32 vcc_lo, s7, v0
	v_mov_b32_e32 v0, v6
	s_or_b32 s6, vcc_lo, s6
	s_andn2_b32 exec_lo, exec_lo, s6
	s_cbranch_execz .LBB6_2138
.LBB6_2134:                             ; =>This Inner Loop Header: Depth=1
	flat_load_dword v7, v[54:55]
	s_mov_b32 s4, exec_lo
                                        ; implicit-def: $vgpr6
	s_waitcnt vmcnt(0) lgkmcnt(0)
	v_and_b32_e32 v1, v7, v71
	v_cmpx_ne_u32_e32 0, v1
	s_xor_b32 s4, exec_lo, s4
	s_cbranch_execz .LBB6_2136
; %bb.2135:                             ;   in Loop: Header=BB6_2134 Depth=1
	v_add_nc_u32_e32 v6, 1, v0
	v_and_b32_e32 v7, v7, v4
	buffer_store_dword v6, off, s[0:3], s33 offset:76
.LBB6_2136:                             ;   in Loop: Header=BB6_2134 Depth=1
	s_or_saveexec_b32 s4, s4
	v_mov_b32_e32 v2, v66
	v_mov_b32_e32 v8, v5
	;; [unrolled: 1-line block ×3, first 2 shown]
	s_xor_b32 exec_lo, exec_lo, s4
	s_cbranch_execz .LBB6_2133
; %bb.2137:                             ;   in Loop: Header=BB6_2134 Depth=1
	v_add_nc_u32_e32 v8, 1, v5
	v_mov_b32_e32 v2, v69
	v_mov_b32_e32 v6, v0
	;; [unrolled: 1-line block ×5, first 2 shown]
	buffer_store_dword v8, off, s[0:3], s33 offset:92
	s_branch .LBB6_2133
.LBB6_2138:
	s_inst_prefetch 0x2
	s_or_b32 exec_lo, exec_lo, s6
	v_cmp_eq_u32_e32 vcc_lo, 0, v8
	s_orn2_b32 s4, vcc_lo, exec_lo
.LBB6_2139:
	v_writelane_b32 v59, s44, 0
	v_writelane_b32 v59, s28, 1
	;; [unrolled: 1-line block ×11, first 2 shown]
	s_or_b32 exec_lo, exec_lo, s5
	flat_load_dword v0, v[64:65] offset:4
	v_mov_b32_e32 v1, 0
	v_mov_b32_e32 v2, v47
	v_mov_b32_e32 v3, v42
	v_mov_b32_e32 v4, v43
	s_xor_b32 s71, s4, -1
	s_getpc_b64 s[4:5]
	s_add_u32 s4, s4, _ZN3sop23sopFactorTrivialCubeRecEjiiPN8subgUtil4SubgILi256EEE@rel32@lo+4
	s_addc_u32 s5, s5, _ZN3sop23sopFactorTrivialCubeRecEjiiPN8subgUtil4SubgILi256EEE@rel32@hi+12
	s_mov_b64 s[8:9], s[52:53]
	s_mov_b64 s[80:81], src_private_base
	s_swappc_b64 s[30:31], s[4:5]
	v_mov_b32_e32 v40, v0
	v_lshrrev_b32_e64 v0, 5, s33
	v_mov_b32_e32 v1, s81
	v_mov_b32_e32 v2, v47
	;; [unrolled: 1-line block ×4, first 2 shown]
	v_add_nc_u32_e32 v0, 0x48, v0
	v_mov_b32_e32 v5, v42
	v_mov_b32_e32 v6, v43
	s_getpc_b64 s[4:5]
	s_add_u32 s4, s4, _ZN3sop12sopFactorRecEPNS_3SopEiP7VecsMemIjLi8192EEPN8subgUtil4SubgILi256EEE@rel32@lo+4
	s_addc_u32 s5, s5, _ZN3sop12sopFactorRecEPNS_3SopEiP7VecsMemIjLi8192EEPN8subgUtil4SubgILi256EEE@rel32@hi+12
	s_mov_b64 s[8:9], s[52:53]
	s_swappc_b64 s[30:31], s[4:5]
	flat_load_dword v1, v[42:43]
	s_mov_b32 s34, s69
	s_mov_b32 s4, exec_lo
	s_waitcnt vmcnt(0) lgkmcnt(0)
	v_cmpx_lt_i32_e32 0xff, v1
	s_xor_b32 s21, exec_lo, s4
	s_cbranch_execz .LBB6_2141
; %bb.2140:
	s_getpc_b64 s[4:5]
	s_add_u32 s4, s4, .str.43@rel32@lo+4
	s_addc_u32 s5, s5, .str.43@rel32@hi+12
	s_getpc_b64 s[6:7]
	s_add_u32 s6, s6, .str.44@rel32@lo+4
	s_addc_u32 s7, s7, .str.44@rel32@hi+12
	s_getpc_b64 s[8:9]
	s_add_u32 s8, s8, __PRETTY_FUNCTION__._ZN8subgUtil4SubgILi256EE10addNodeAndEii@rel32@lo+4
	s_addc_u32 s9, s9, __PRETTY_FUNCTION__._ZN8subgUtil4SubgILi256EE10addNodeAndEii@rel32@hi+12
	v_mov_b32_e32 v0, s4
	v_mov_b32_e32 v1, s5
	v_mov_b32_e32 v2, s6
	v_mov_b32_e32 v3, s7
	v_mov_b32_e32 v4, 60
	v_mov_b32_e32 v5, s8
	v_mov_b32_e32 v6, s9
	s_getpc_b64 s[10:11]
	s_add_u32 s10, s10, __assert_fail@rel32@lo+4
	s_addc_u32 s11, s11, __assert_fail@rel32@hi+12
	s_mov_b64 s[8:9], s[52:53]
	s_swappc_b64 s[30:31], s[10:11]
	s_or_b32 s34, s69, exec_lo
                                        ; implicit-def: $vgpr1
                                        ; implicit-def: $vgpr40
                                        ; implicit-def: $vgpr0
                                        ; implicit-def: $vgpr42_vgpr43
                                        ; implicit-def: $vgpr44
                                        ; implicit-def: $vgpr47
.LBB6_2141:
	s_or_saveexec_b32 s35, s21
	v_readlane_b32 s28, v59, 1
	v_readlane_b32 s24, v59, 10
	;; [unrolled: 1-line block ×11, first 2 shown]
	s_mov_b32 s4, 0
	s_mov_b32 s5, s28
                                        ; implicit-def: $vgpr41
	s_xor_b32 exec_lo, exec_lo, s35
	s_cbranch_execz .LBB6_2350
; %bb.2142:
	v_or_b32_e32 v2, v0, v40
	s_mov_b32 s4, -1
	s_mov_b32 s5, s28
	s_mov_b32 s6, s34
	s_mov_b32 s37, exec_lo
                                        ; implicit-def: $vgpr41
	v_cmpx_lt_i32_e32 -1, v2
	s_cbranch_execz .LBB6_2349
; %bb.2143:
	v_ashrrev_i32_e32 v2, 31, v1
	v_max_i32_e32 v4, v40, v0
	v_min_i32_e32 v5, v40, v0
	v_add_nc_u32_e32 v0, 1, v1
	v_lshlrev_b32_e32 v41, 1, v1
	v_lshlrev_b64 v[2:3], 3, v[1:2]
	v_lshlrev_b32_e32 v4, 1, v4
	s_mov_b32 s5, -1
	s_mov_b32 s4, s34
	flat_store_dword v[42:43], v0
	v_add_co_u32 v2, vcc_lo, v42, v2
	v_add_co_ci_u32_e64 v3, null, v43, v3, vcc_lo
	flat_store_dwordx2 v[2:3], v[4:5] offset:8
	s_and_saveexec_b32 s36, s71
	s_cbranch_execz .LBB6_2346
; %bb.2144:
	v_lshrrev_b32_e64 v0, 5, s33
	s_mov_b64 s[4:5], src_private_base
	v_mov_b32_e32 v2, v47
	v_mov_b32_e32 v1, s5
	;; [unrolled: 1-line block ×3, first 2 shown]
	v_add_nc_u32_e32 v0, 0x58, v0
	v_mov_b32_e32 v4, v45
	v_mov_b32_e32 v5, v42
	;; [unrolled: 1-line block ×3, first 2 shown]
	s_getpc_b64 s[6:7]
	s_add_u32 s6, s6, _ZN3sop12sopFactorRecEPNS_3SopEiP7VecsMemIjLi8192EEPN8subgUtil4SubgILi256EEE@rel32@lo+4
	s_addc_u32 s7, s7, _ZN3sop12sopFactorRecEPNS_3SopEiP7VecsMemIjLi8192EEPN8subgUtil4SubgILi256EEE@rel32@hi+12
	s_mov_b64 s[8:9], s[52:53]
	s_swappc_b64 s[30:31], s[6:7]
	flat_load_dword v1, v[42:43]
	s_mov_b32 s21, s34
	s_mov_b32 s4, exec_lo
	s_waitcnt vmcnt(0) lgkmcnt(0)
	v_cmpx_lt_i32_e32 0xff, v1
	s_xor_b32 s22, exec_lo, s4
	s_cbranch_execz .LBB6_2146
; %bb.2145:
	s_getpc_b64 s[4:5]
	s_add_u32 s4, s4, .str.43@rel32@lo+4
	s_addc_u32 s5, s5, .str.43@rel32@hi+12
	s_getpc_b64 s[6:7]
	s_add_u32 s6, s6, .str.44@rel32@lo+4
	s_addc_u32 s7, s7, .str.44@rel32@hi+12
	s_getpc_b64 s[8:9]
	s_add_u32 s8, s8, __PRETTY_FUNCTION__._ZN8subgUtil4SubgILi256EE9addNodeOrEii@rel32@lo+4
	s_addc_u32 s9, s9, __PRETTY_FUNCTION__._ZN8subgUtil4SubgILi256EE9addNodeOrEii@rel32@hi+12
	v_mov_b32_e32 v0, s4
	v_mov_b32_e32 v1, s5
	;; [unrolled: 1-line block ×7, first 2 shown]
	s_getpc_b64 s[10:11]
	s_add_u32 s10, s10, __assert_fail@rel32@lo+4
	s_addc_u32 s11, s11, __assert_fail@rel32@hi+12
	s_mov_b64 s[8:9], s[52:53]
	s_swappc_b64 s[30:31], s[10:11]
	s_or_b32 s21, s34, exec_lo
                                        ; implicit-def: $vgpr0
                                        ; implicit-def: $vgpr41
                                        ; implicit-def: $vgpr42_vgpr43
.LBB6_2146:
	s_or_saveexec_b32 s22, s22
	s_mov_b32 s5, 0
	s_xor_b32 exec_lo, exec_lo, s22
	s_cbranch_execz .LBB6_2345
; %bb.2147:
	v_min_i32_e32 v34, v41, v0
	v_max_i32_e32 v3, v41, v0
	v_xor_b32_e32 v30, 1, v34
	v_xor_b32_e32 v31, 1, v3
	v_cmp_gt_i32_e64 s4, v30, v31
	s_and_saveexec_b32 s20, s4
	s_cbranch_execz .LBB6_2340
; %bb.2148:
	s_load_dwordx2 s[6:7], s[52:53], 0x50
	v_mbcnt_lo_u32_b32 v33, -1, 0
	v_mov_b32_e32 v1, 0
	v_mov_b32_e32 v2, 0
	v_readfirstlane_b32 s5, v33
	v_cmp_eq_u32_e64 s5, s5, v33
	s_and_saveexec_b32 s8, s5
	s_cbranch_execz .LBB6_2154
; %bb.2149:
	v_mov_b32_e32 v4, 0
	s_mov_b32 s9, exec_lo
	s_waitcnt lgkmcnt(0)
	global_load_dwordx2 v[7:8], v4, s[6:7] offset:24 glc dlc
	s_waitcnt vmcnt(0)
	buffer_gl1_inv
	buffer_gl0_inv
	s_clause 0x1
	global_load_dwordx2 v[1:2], v4, s[6:7] offset:40
	global_load_dwordx2 v[5:6], v4, s[6:7]
	s_waitcnt vmcnt(1)
	v_and_b32_e32 v2, v2, v8
	v_and_b32_e32 v1, v1, v7
	v_mul_lo_u32 v2, v2, 24
	v_mul_hi_u32 v9, v1, 24
	v_mul_lo_u32 v1, v1, 24
	v_add_nc_u32_e32 v2, v9, v2
	s_waitcnt vmcnt(0)
	v_add_co_u32 v1, vcc_lo, v5, v1
	v_add_co_ci_u32_e64 v2, null, v6, v2, vcc_lo
	global_load_dwordx2 v[5:6], v[1:2], off glc dlc
	s_waitcnt vmcnt(0)
	global_atomic_cmpswap_x2 v[1:2], v4, v[5:8], s[6:7] offset:24 glc
	s_waitcnt vmcnt(0)
	buffer_gl1_inv
	buffer_gl0_inv
	v_cmpx_ne_u64_e64 v[1:2], v[7:8]
	s_cbranch_execz .LBB6_2153
; %bb.2150:
	s_mov_b32 s10, 0
.LBB6_2151:                             ; =>This Inner Loop Header: Depth=1
	s_sleep 1
	s_clause 0x1
	global_load_dwordx2 v[5:6], v4, s[6:7] offset:40
	global_load_dwordx2 v[9:10], v4, s[6:7]
	v_mov_b32_e32 v8, v2
	v_mov_b32_e32 v7, v1
	s_waitcnt vmcnt(1)
	v_and_b32_e32 v1, v5, v7
	v_and_b32_e32 v5, v6, v8
	s_waitcnt vmcnt(0)
	v_mad_u64_u32 v[1:2], null, v1, 24, v[9:10]
	v_mad_u64_u32 v[5:6], null, v5, 24, v[2:3]
	v_mov_b32_e32 v2, v5
	global_load_dwordx2 v[5:6], v[1:2], off glc dlc
	s_waitcnt vmcnt(0)
	global_atomic_cmpswap_x2 v[1:2], v4, v[5:8], s[6:7] offset:24 glc
	s_waitcnt vmcnt(0)
	buffer_gl1_inv
	buffer_gl0_inv
	v_cmp_eq_u64_e32 vcc_lo, v[1:2], v[7:8]
	s_or_b32 s10, vcc_lo, s10
	s_andn2_b32 exec_lo, exec_lo, s10
	s_cbranch_execnz .LBB6_2151
; %bb.2152:
	s_or_b32 exec_lo, exec_lo, s10
.LBB6_2153:
	s_or_b32 exec_lo, exec_lo, s9
.LBB6_2154:
	s_or_b32 exec_lo, exec_lo, s8
	v_mov_b32_e32 v9, 0
	v_readfirstlane_b32 s9, v2
	v_readfirstlane_b32 s8, v1
	s_mov_b32 s12, exec_lo
	s_waitcnt lgkmcnt(0)
	s_clause 0x1
	global_load_dwordx2 v[10:11], v9, s[6:7] offset:40
	global_load_dwordx4 v[4:7], v9, s[6:7]
	s_waitcnt vmcnt(1)
	v_readfirstlane_b32 s10, v10
	v_readfirstlane_b32 s11, v11
	s_and_b64 s[10:11], s[10:11], s[8:9]
	s_mul_i32 s13, s11, 24
	s_mul_hi_u32 s14, s10, 24
	s_mul_i32 s15, s10, 24
	s_add_i32 s14, s14, s13
	s_waitcnt vmcnt(0)
	v_add_co_u32 v1, vcc_lo, v4, s15
	v_add_co_ci_u32_e64 v2, null, s14, v5, vcc_lo
	s_and_saveexec_b32 s13, s5
	s_cbranch_execz .LBB6_2156
; %bb.2155:
	v_mov_b32_e32 v8, s12
	v_mov_b32_e32 v10, 2
	;; [unrolled: 1-line block ×3, first 2 shown]
	global_store_dwordx4 v[1:2], v[8:11], off offset:8
.LBB6_2156:
	s_or_b32 exec_lo, exec_lo, s13
	s_lshl_b64 s[10:11], s[10:11], 12
	v_lshlrev_b32_e32 v32, 6, v33
	v_add_co_u32 v6, vcc_lo, v6, s10
	v_add_co_ci_u32_e64 v7, null, s11, v7, vcc_lo
	s_mov_b32 s12, 0
	v_add_co_u32 v12, vcc_lo, v6, v32
	s_mov_b32 s15, s12
	s_mov_b32 s13, s12
	;; [unrolled: 1-line block ×3, first 2 shown]
	v_mov_b32_e32 v8, 33
	v_mov_b32_e32 v10, v9
	;; [unrolled: 1-line block ×3, first 2 shown]
	v_readfirstlane_b32 s10, v6
	v_readfirstlane_b32 s11, v7
	v_mov_b32_e32 v17, s15
	v_add_co_ci_u32_e64 v13, null, 0, v7, vcc_lo
	v_mov_b32_e32 v16, s14
	v_mov_b32_e32 v15, s13
	;; [unrolled: 1-line block ×3, first 2 shown]
	global_store_dwordx4 v32, v[8:11], s[10:11]
	global_store_dwordx4 v32, v[14:17], s[10:11] offset:16
	global_store_dwordx4 v32, v[14:17], s[10:11] offset:32
	;; [unrolled: 1-line block ×3, first 2 shown]
	s_and_saveexec_b32 s10, s5
	s_cbranch_execz .LBB6_2163
; %bb.2157:
	v_mov_b32_e32 v10, 0
	v_mov_b32_e32 v14, s8
	;; [unrolled: 1-line block ×3, first 2 shown]
	s_mov_b32 s11, exec_lo
	s_clause 0x1
	global_load_dwordx2 v[16:17], v10, s[6:7] offset:32 glc dlc
	global_load_dwordx2 v[6:7], v10, s[6:7] offset:40
	s_waitcnt vmcnt(0)
	v_and_b32_e32 v7, s9, v7
	v_and_b32_e32 v6, s8, v6
	v_mul_lo_u32 v7, v7, 24
	v_mul_hi_u32 v8, v6, 24
	v_mul_lo_u32 v6, v6, 24
	v_add_nc_u32_e32 v7, v8, v7
	v_add_co_u32 v8, vcc_lo, v4, v6
	v_add_co_ci_u32_e64 v9, null, v5, v7, vcc_lo
	global_store_dwordx2 v[8:9], v[16:17], off
	s_waitcnt_vscnt null, 0x0
	global_atomic_cmpswap_x2 v[6:7], v10, v[14:17], s[6:7] offset:32 glc
	s_waitcnt vmcnt(0)
	v_cmpx_ne_u64_e64 v[6:7], v[16:17]
	s_cbranch_execz .LBB6_2159
.LBB6_2158:                             ; =>This Inner Loop Header: Depth=1
	v_mov_b32_e32 v4, s8
	v_mov_b32_e32 v5, s9
	s_sleep 1
	global_store_dwordx2 v[8:9], v[6:7], off
	s_waitcnt_vscnt null, 0x0
	global_atomic_cmpswap_x2 v[4:5], v10, v[4:7], s[6:7] offset:32 glc
	s_waitcnt vmcnt(0)
	v_cmp_eq_u64_e32 vcc_lo, v[4:5], v[6:7]
	v_mov_b32_e32 v7, v5
	v_mov_b32_e32 v6, v4
	s_or_b32 s12, vcc_lo, s12
	s_andn2_b32 exec_lo, exec_lo, s12
	s_cbranch_execnz .LBB6_2158
.LBB6_2159:
	s_or_b32 exec_lo, exec_lo, s11
	v_mov_b32_e32 v7, 0
	s_mov_b32 s12, exec_lo
	s_mov_b32 s11, exec_lo
	v_mbcnt_lo_u32_b32 v6, s12, 0
	global_load_dwordx2 v[4:5], v7, s[6:7] offset:16
	v_cmpx_eq_u32_e32 0, v6
	s_cbranch_execz .LBB6_2161
; %bb.2160:
	s_bcnt1_i32_b32 s12, s12
	v_mov_b32_e32 v6, s12
	s_waitcnt vmcnt(0)
	global_atomic_add_x2 v[4:5], v[6:7], off offset:8
.LBB6_2161:
	s_or_b32 exec_lo, exec_lo, s11
	s_waitcnt vmcnt(0)
	global_load_dwordx2 v[6:7], v[4:5], off offset:16
	s_waitcnt vmcnt(0)
	v_cmp_eq_u64_e32 vcc_lo, 0, v[6:7]
	s_cbranch_vccnz .LBB6_2163
; %bb.2162:
	global_load_dword v4, v[4:5], off offset:24
	v_mov_b32_e32 v5, 0
	s_waitcnt vmcnt(0)
	v_readfirstlane_b32 s11, v4
	s_waitcnt_vscnt null, 0x0
	global_store_dwordx2 v[6:7], v[4:5], off
	s_and_b32 m0, s11, 0x7fffff
	s_sendmsg sendmsg(MSG_INTERRUPT)
.LBB6_2163:
	s_or_b32 exec_lo, exec_lo, s10
	s_branch .LBB6_2167
.LBB6_2164:                             ;   in Loop: Header=BB6_2167 Depth=1
	s_or_b32 exec_lo, exec_lo, s10
	v_readfirstlane_b32 s10, v4
	s_cmp_eq_u32 s10, 0
	s_cbranch_scc1 .LBB6_2166
; %bb.2165:                             ;   in Loop: Header=BB6_2167 Depth=1
	s_sleep 1
	s_cbranch_execnz .LBB6_2167
	s_branch .LBB6_2169
.LBB6_2166:
	s_branch .LBB6_2169
.LBB6_2167:                             ; =>This Inner Loop Header: Depth=1
	v_mov_b32_e32 v4, 1
	s_and_saveexec_b32 s10, s5
	s_cbranch_execz .LBB6_2164
; %bb.2168:                             ;   in Loop: Header=BB6_2167 Depth=1
	global_load_dword v4, v[1:2], off offset:20 glc dlc
	s_waitcnt vmcnt(0)
	buffer_gl1_inv
	buffer_gl0_inv
	v_and_b32_e32 v4, 1, v4
	s_branch .LBB6_2164
.LBB6_2169:
	global_load_dwordx2 v[4:5], v[12:13], off
	s_and_saveexec_b32 s10, s5
	s_cbranch_execz .LBB6_2173
; %bb.2170:
	v_mov_b32_e32 v10, 0
	s_clause 0x2
	global_load_dwordx2 v[1:2], v10, s[6:7] offset:40
	global_load_dwordx2 v[13:14], v10, s[6:7] offset:24 glc dlc
	global_load_dwordx2 v[6:7], v10, s[6:7]
	s_waitcnt vmcnt(2)
	v_readfirstlane_b32 s12, v1
	v_readfirstlane_b32 s13, v2
	s_add_u32 s5, s12, 1
	s_addc_u32 s11, s13, 0
	s_add_u32 s8, s5, s8
	s_addc_u32 s9, s11, s9
	s_cmp_eq_u64 s[8:9], 0
	s_cselect_b32 s9, s11, s9
	s_cselect_b32 s8, s5, s8
	v_mov_b32_e32 v12, s9
	s_and_b64 s[12:13], s[8:9], s[12:13]
	v_mov_b32_e32 v11, s8
	s_mul_i32 s5, s13, 24
	s_mul_hi_u32 s11, s12, 24
	s_mul_i32 s12, s12, 24
	s_add_i32 s11, s11, s5
	s_waitcnt vmcnt(0)
	v_add_co_u32 v1, vcc_lo, v6, s12
	v_add_co_ci_u32_e64 v2, null, s11, v7, vcc_lo
	global_store_dwordx2 v[1:2], v[13:14], off
	s_waitcnt_vscnt null, 0x0
	global_atomic_cmpswap_x2 v[8:9], v10, v[11:14], s[6:7] offset:24 glc
	s_waitcnt vmcnt(0)
	v_cmp_ne_u64_e32 vcc_lo, v[8:9], v[13:14]
	s_and_b32 exec_lo, exec_lo, vcc_lo
	s_cbranch_execz .LBB6_2173
; %bb.2171:
	s_mov_b32 s5, 0
.LBB6_2172:                             ; =>This Inner Loop Header: Depth=1
	v_mov_b32_e32 v6, s8
	v_mov_b32_e32 v7, s9
	s_sleep 1
	global_store_dwordx2 v[1:2], v[8:9], off
	s_waitcnt_vscnt null, 0x0
	global_atomic_cmpswap_x2 v[6:7], v10, v[6:9], s[6:7] offset:24 glc
	s_waitcnt vmcnt(0)
	v_cmp_eq_u64_e32 vcc_lo, v[6:7], v[8:9]
	v_mov_b32_e32 v9, v7
	v_mov_b32_e32 v8, v6
	s_or_b32 s5, vcc_lo, s5
	s_andn2_b32 exec_lo, exec_lo, s5
	s_cbranch_execnz .LBB6_2172
.LBB6_2173:
	s_or_b32 exec_lo, exec_lo, s10
	s_getpc_b64 s[8:9]
	s_add_u32 s8, s8, .str.45@rel32@lo+4
	s_addc_u32 s9, s9, .str.45@rel32@hi+12
	s_cmp_lg_u64 s[8:9], 0
	s_cbranch_scc0 .LBB6_2259
; %bb.2174:
	s_waitcnt vmcnt(0)
	v_and_b32_e32 v35, 2, v4
	v_mov_b32_e32 v11, 0
	v_and_b32_e32 v6, -3, v4
	v_mov_b32_e32 v7, v5
	v_mov_b32_e32 v12, 2
	;; [unrolled: 1-line block ×3, first 2 shown]
	s_mov_b64 s[10:11], 7
	s_branch .LBB6_2176
.LBB6_2175:                             ;   in Loop: Header=BB6_2176 Depth=1
	s_or_b32 exec_lo, exec_lo, s16
	s_sub_u32 s10, s10, s12
	s_subb_u32 s11, s11, s13
	s_add_u32 s8, s8, s12
	s_addc_u32 s9, s9, s13
	s_cmp_lg_u64 s[10:11], 0
	s_cbranch_scc0 .LBB6_2258
.LBB6_2176:                             ; =>This Loop Header: Depth=1
                                        ;     Child Loop BB6_2179 Depth 2
                                        ;     Child Loop BB6_2187 Depth 2
	;; [unrolled: 1-line block ×11, first 2 shown]
	v_cmp_lt_u64_e64 s5, s[10:11], 56
	v_cmp_gt_u64_e64 s16, s[10:11], 7
	s_and_b32 s5, s5, exec_lo
	s_cselect_b32 s13, s11, 0
	s_cselect_b32 s12, s10, 56
	s_add_u32 s14, s8, 8
	s_addc_u32 s15, s9, 0
	s_and_b32 vcc_lo, exec_lo, s16
	s_cbranch_vccnz .LBB6_2181
; %bb.2177:                             ;   in Loop: Header=BB6_2176 Depth=1
	v_mov_b32_e32 v8, 0
	v_mov_b32_e32 v9, 0
	s_cmp_eq_u64 s[10:11], 0
	s_cbranch_scc1 .LBB6_2180
; %bb.2178:                             ;   in Loop: Header=BB6_2176 Depth=1
	s_lshl_b64 s[14:15], s[12:13], 3
	s_mov_b64 s[16:17], 0
	s_mov_b64 s[18:19], s[8:9]
.LBB6_2179:                             ;   Parent Loop BB6_2176 Depth=1
                                        ; =>  This Inner Loop Header: Depth=2
	global_load_ubyte v1, v11, s[18:19]
	s_waitcnt vmcnt(0)
	v_and_b32_e32 v10, 0xffff, v1
	v_lshlrev_b64 v[1:2], s16, v[10:11]
	s_add_u32 s16, s16, 8
	s_addc_u32 s17, s17, 0
	s_add_u32 s18, s18, 1
	s_addc_u32 s19, s19, 0
	s_cmp_lg_u32 s14, s16
	v_or_b32_e32 v8, v1, v8
	v_or_b32_e32 v9, v2, v9
	s_cbranch_scc1 .LBB6_2179
.LBB6_2180:                             ;   in Loop: Header=BB6_2176 Depth=1
	s_mov_b32 s5, 0
	s_mov_b64 s[14:15], s[8:9]
	s_branch .LBB6_2182
.LBB6_2181:                             ;   in Loop: Header=BB6_2176 Depth=1
	s_mov_b32 s5, -1
.LBB6_2182:                             ;   in Loop: Header=BB6_2176 Depth=1
	s_andn2_b32 vcc_lo, exec_lo, s5
	s_mov_b32 s5, 0
	s_cbranch_vccnz .LBB6_2184
; %bb.2183:                             ;   in Loop: Header=BB6_2176 Depth=1
	global_load_dwordx2 v[8:9], v11, s[8:9]
	s_add_i32 s5, s12, -8
.LBB6_2184:                             ;   in Loop: Header=BB6_2176 Depth=1
	s_add_u32 s16, s14, 8
	s_addc_u32 s17, s15, 0
	s_cmp_gt_u32 s5, 7
	s_cbranch_scc1 .LBB6_2189
; %bb.2185:                             ;   in Loop: Header=BB6_2176 Depth=1
	v_mov_b32_e32 v14, 0
	v_mov_b32_e32 v15, 0
	s_cmp_eq_u32 s5, 0
	s_cbranch_scc1 .LBB6_2188
; %bb.2186:                             ;   in Loop: Header=BB6_2176 Depth=1
	s_mov_b64 s[16:17], 0
	s_mov_b64 s[18:19], 0
.LBB6_2187:                             ;   Parent Loop BB6_2176 Depth=1
                                        ; =>  This Inner Loop Header: Depth=2
	s_add_u32 s24, s14, s18
	s_addc_u32 s25, s15, s19
	s_add_u32 s18, s18, 1
	global_load_ubyte v1, v11, s[24:25]
	s_addc_u32 s19, s19, 0
	s_waitcnt vmcnt(0)
	v_and_b32_e32 v10, 0xffff, v1
	v_lshlrev_b64 v[1:2], s16, v[10:11]
	s_add_u32 s16, s16, 8
	s_addc_u32 s17, s17, 0
	s_cmp_lg_u32 s5, s18
	v_or_b32_e32 v14, v1, v14
	v_or_b32_e32 v15, v2, v15
	s_cbranch_scc1 .LBB6_2187
.LBB6_2188:                             ;   in Loop: Header=BB6_2176 Depth=1
	s_mov_b32 s18, 0
	s_mov_b64 s[16:17], s[14:15]
	s_branch .LBB6_2190
.LBB6_2189:                             ;   in Loop: Header=BB6_2176 Depth=1
	s_mov_b32 s18, -1
                                        ; implicit-def: $vgpr14_vgpr15
.LBB6_2190:                             ;   in Loop: Header=BB6_2176 Depth=1
	s_andn2_b32 vcc_lo, exec_lo, s18
	s_mov_b32 s23, 0
	s_cbranch_vccnz .LBB6_2192
; %bb.2191:                             ;   in Loop: Header=BB6_2176 Depth=1
	global_load_dwordx2 v[14:15], v11, s[14:15]
	s_add_i32 s23, s5, -8
.LBB6_2192:                             ;   in Loop: Header=BB6_2176 Depth=1
	s_add_u32 s14, s16, 8
	s_addc_u32 s15, s17, 0
	s_cmp_gt_u32 s23, 7
	s_cbranch_scc1 .LBB6_2197
; %bb.2193:                             ;   in Loop: Header=BB6_2176 Depth=1
	v_mov_b32_e32 v16, 0
	v_mov_b32_e32 v17, 0
	s_cmp_eq_u32 s23, 0
	s_cbranch_scc1 .LBB6_2196
; %bb.2194:                             ;   in Loop: Header=BB6_2176 Depth=1
	s_mov_b64 s[14:15], 0
	s_mov_b64 s[18:19], 0
.LBB6_2195:                             ;   Parent Loop BB6_2176 Depth=1
                                        ; =>  This Inner Loop Header: Depth=2
	s_add_u32 s24, s16, s18
	s_addc_u32 s25, s17, s19
	s_add_u32 s18, s18, 1
	global_load_ubyte v1, v11, s[24:25]
	s_addc_u32 s19, s19, 0
	s_waitcnt vmcnt(0)
	v_and_b32_e32 v10, 0xffff, v1
	v_lshlrev_b64 v[1:2], s14, v[10:11]
	s_add_u32 s14, s14, 8
	s_addc_u32 s15, s15, 0
	s_cmp_lg_u32 s23, s18
	v_or_b32_e32 v16, v1, v16
	v_or_b32_e32 v17, v2, v17
	s_cbranch_scc1 .LBB6_2195
.LBB6_2196:                             ;   in Loop: Header=BB6_2176 Depth=1
	s_mov_b32 s5, 0
	s_mov_b64 s[14:15], s[16:17]
	s_branch .LBB6_2198
.LBB6_2197:                             ;   in Loop: Header=BB6_2176 Depth=1
	s_mov_b32 s5, -1
.LBB6_2198:                             ;   in Loop: Header=BB6_2176 Depth=1
	s_andn2_b32 vcc_lo, exec_lo, s5
	s_mov_b32 s5, 0
	s_cbranch_vccnz .LBB6_2200
; %bb.2199:                             ;   in Loop: Header=BB6_2176 Depth=1
	global_load_dwordx2 v[16:17], v11, s[16:17]
	s_add_i32 s5, s23, -8
.LBB6_2200:                             ;   in Loop: Header=BB6_2176 Depth=1
	s_add_u32 s16, s14, 8
	s_addc_u32 s17, s15, 0
	s_cmp_gt_u32 s5, 7
	s_cbranch_scc1 .LBB6_2205
; %bb.2201:                             ;   in Loop: Header=BB6_2176 Depth=1
	v_mov_b32_e32 v18, 0
	v_mov_b32_e32 v19, 0
	s_cmp_eq_u32 s5, 0
	s_cbranch_scc1 .LBB6_2204
; %bb.2202:                             ;   in Loop: Header=BB6_2176 Depth=1
	s_mov_b64 s[16:17], 0
	s_mov_b64 s[18:19], 0
.LBB6_2203:                             ;   Parent Loop BB6_2176 Depth=1
                                        ; =>  This Inner Loop Header: Depth=2
	s_add_u32 s24, s14, s18
	s_addc_u32 s25, s15, s19
	s_add_u32 s18, s18, 1
	global_load_ubyte v1, v11, s[24:25]
	s_addc_u32 s19, s19, 0
	s_waitcnt vmcnt(0)
	v_and_b32_e32 v10, 0xffff, v1
	v_lshlrev_b64 v[1:2], s16, v[10:11]
	s_add_u32 s16, s16, 8
	s_addc_u32 s17, s17, 0
	s_cmp_lg_u32 s5, s18
	v_or_b32_e32 v18, v1, v18
	v_or_b32_e32 v19, v2, v19
	s_cbranch_scc1 .LBB6_2203
.LBB6_2204:                             ;   in Loop: Header=BB6_2176 Depth=1
	s_mov_b32 s18, 0
	s_mov_b64 s[16:17], s[14:15]
	s_branch .LBB6_2206
.LBB6_2205:                             ;   in Loop: Header=BB6_2176 Depth=1
	s_mov_b32 s18, -1
                                        ; implicit-def: $vgpr18_vgpr19
.LBB6_2206:                             ;   in Loop: Header=BB6_2176 Depth=1
	s_andn2_b32 vcc_lo, exec_lo, s18
	s_mov_b32 s23, 0
	s_cbranch_vccnz .LBB6_2208
; %bb.2207:                             ;   in Loop: Header=BB6_2176 Depth=1
	global_load_dwordx2 v[18:19], v11, s[14:15]
	s_add_i32 s23, s5, -8
.LBB6_2208:                             ;   in Loop: Header=BB6_2176 Depth=1
	s_add_u32 s14, s16, 8
	s_addc_u32 s15, s17, 0
	s_cmp_gt_u32 s23, 7
	s_cbranch_scc1 .LBB6_2213
; %bb.2209:                             ;   in Loop: Header=BB6_2176 Depth=1
	v_mov_b32_e32 v20, 0
	v_mov_b32_e32 v21, 0
	s_cmp_eq_u32 s23, 0
	s_cbranch_scc1 .LBB6_2212
; %bb.2210:                             ;   in Loop: Header=BB6_2176 Depth=1
	s_mov_b64 s[14:15], 0
	s_mov_b64 s[18:19], 0
.LBB6_2211:                             ;   Parent Loop BB6_2176 Depth=1
                                        ; =>  This Inner Loop Header: Depth=2
	s_add_u32 s24, s16, s18
	s_addc_u32 s25, s17, s19
	s_add_u32 s18, s18, 1
	global_load_ubyte v1, v11, s[24:25]
	s_addc_u32 s19, s19, 0
	s_waitcnt vmcnt(0)
	v_and_b32_e32 v10, 0xffff, v1
	v_lshlrev_b64 v[1:2], s14, v[10:11]
	s_add_u32 s14, s14, 8
	s_addc_u32 s15, s15, 0
	s_cmp_lg_u32 s23, s18
	v_or_b32_e32 v20, v1, v20
	v_or_b32_e32 v21, v2, v21
	s_cbranch_scc1 .LBB6_2211
.LBB6_2212:                             ;   in Loop: Header=BB6_2176 Depth=1
	s_mov_b32 s5, 0
	s_mov_b64 s[14:15], s[16:17]
	s_branch .LBB6_2214
.LBB6_2213:                             ;   in Loop: Header=BB6_2176 Depth=1
	s_mov_b32 s5, -1
.LBB6_2214:                             ;   in Loop: Header=BB6_2176 Depth=1
	s_andn2_b32 vcc_lo, exec_lo, s5
	s_mov_b32 s5, 0
	s_cbranch_vccnz .LBB6_2216
; %bb.2215:                             ;   in Loop: Header=BB6_2176 Depth=1
	global_load_dwordx2 v[20:21], v11, s[16:17]
	s_add_i32 s5, s23, -8
.LBB6_2216:                             ;   in Loop: Header=BB6_2176 Depth=1
	s_add_u32 s16, s14, 8
	s_addc_u32 s17, s15, 0
	s_cmp_gt_u32 s5, 7
	s_cbranch_scc1 .LBB6_2221
; %bb.2217:                             ;   in Loop: Header=BB6_2176 Depth=1
	v_mov_b32_e32 v22, 0
	v_mov_b32_e32 v23, 0
	s_cmp_eq_u32 s5, 0
	s_cbranch_scc1 .LBB6_2220
; %bb.2218:                             ;   in Loop: Header=BB6_2176 Depth=1
	s_mov_b64 s[16:17], 0
	s_mov_b64 s[18:19], 0
.LBB6_2219:                             ;   Parent Loop BB6_2176 Depth=1
                                        ; =>  This Inner Loop Header: Depth=2
	s_add_u32 s24, s14, s18
	s_addc_u32 s25, s15, s19
	s_add_u32 s18, s18, 1
	global_load_ubyte v1, v11, s[24:25]
	s_addc_u32 s19, s19, 0
	s_waitcnt vmcnt(0)
	v_and_b32_e32 v10, 0xffff, v1
	v_lshlrev_b64 v[1:2], s16, v[10:11]
	s_add_u32 s16, s16, 8
	s_addc_u32 s17, s17, 0
	s_cmp_lg_u32 s5, s18
	v_or_b32_e32 v22, v1, v22
	v_or_b32_e32 v23, v2, v23
	s_cbranch_scc1 .LBB6_2219
.LBB6_2220:                             ;   in Loop: Header=BB6_2176 Depth=1
	s_mov_b32 s18, 0
	s_mov_b64 s[16:17], s[14:15]
	s_branch .LBB6_2222
.LBB6_2221:                             ;   in Loop: Header=BB6_2176 Depth=1
	s_mov_b32 s18, -1
                                        ; implicit-def: $vgpr22_vgpr23
.LBB6_2222:                             ;   in Loop: Header=BB6_2176 Depth=1
	s_andn2_b32 vcc_lo, exec_lo, s18
	s_mov_b32 s23, 0
	s_cbranch_vccnz .LBB6_2224
; %bb.2223:                             ;   in Loop: Header=BB6_2176 Depth=1
	global_load_dwordx2 v[22:23], v11, s[14:15]
	s_add_i32 s23, s5, -8
.LBB6_2224:                             ;   in Loop: Header=BB6_2176 Depth=1
	s_cmp_gt_u32 s23, 7
	s_cbranch_scc1 .LBB6_2229
; %bb.2225:                             ;   in Loop: Header=BB6_2176 Depth=1
	v_mov_b32_e32 v24, 0
	v_mov_b32_e32 v25, 0
	s_cmp_eq_u32 s23, 0
	s_cbranch_scc1 .LBB6_2228
; %bb.2226:                             ;   in Loop: Header=BB6_2176 Depth=1
	s_mov_b64 s[14:15], 0
	s_mov_b64 s[18:19], s[16:17]
.LBB6_2227:                             ;   Parent Loop BB6_2176 Depth=1
                                        ; =>  This Inner Loop Header: Depth=2
	global_load_ubyte v1, v11, s[18:19]
	s_add_i32 s23, s23, -1
	s_waitcnt vmcnt(0)
	v_and_b32_e32 v10, 0xffff, v1
	v_lshlrev_b64 v[1:2], s14, v[10:11]
	s_add_u32 s14, s14, 8
	s_addc_u32 s15, s15, 0
	s_add_u32 s18, s18, 1
	s_addc_u32 s19, s19, 0
	s_cmp_lg_u32 s23, 0
	v_or_b32_e32 v24, v1, v24
	v_or_b32_e32 v25, v2, v25
	s_cbranch_scc1 .LBB6_2227
.LBB6_2228:                             ;   in Loop: Header=BB6_2176 Depth=1
	s_mov_b32 s5, 0
	s_branch .LBB6_2230
.LBB6_2229:                             ;   in Loop: Header=BB6_2176 Depth=1
	s_mov_b32 s5, -1
.LBB6_2230:                             ;   in Loop: Header=BB6_2176 Depth=1
	s_andn2_b32 vcc_lo, exec_lo, s5
	s_cbranch_vccnz .LBB6_2232
; %bb.2231:                             ;   in Loop: Header=BB6_2176 Depth=1
	global_load_dwordx2 v[24:25], v11, s[16:17]
.LBB6_2232:                             ;   in Loop: Header=BB6_2176 Depth=1
	v_readfirstlane_b32 s5, v33
	v_mov_b32_e32 v1, 0
	v_mov_b32_e32 v2, 0
	v_cmp_eq_u32_e64 s5, s5, v33
	s_and_saveexec_b32 s14, s5
	s_cbranch_execz .LBB6_2238
; %bb.2233:                             ;   in Loop: Header=BB6_2176 Depth=1
	global_load_dwordx2 v[28:29], v11, s[6:7] offset:24 glc dlc
	s_waitcnt vmcnt(0)
	buffer_gl1_inv
	buffer_gl0_inv
	s_clause 0x1
	global_load_dwordx2 v[1:2], v11, s[6:7] offset:40
	global_load_dwordx2 v[26:27], v11, s[6:7]
	s_mov_b32 s15, exec_lo
	s_waitcnt vmcnt(1)
	v_and_b32_e32 v2, v2, v29
	v_and_b32_e32 v1, v1, v28
	v_mul_lo_u32 v2, v2, 24
	v_mul_hi_u32 v10, v1, 24
	v_mul_lo_u32 v1, v1, 24
	v_add_nc_u32_e32 v2, v10, v2
	s_waitcnt vmcnt(0)
	v_add_co_u32 v1, vcc_lo, v26, v1
	v_add_co_ci_u32_e64 v2, null, v27, v2, vcc_lo
	global_load_dwordx2 v[26:27], v[1:2], off glc dlc
	s_waitcnt vmcnt(0)
	global_atomic_cmpswap_x2 v[1:2], v11, v[26:29], s[6:7] offset:24 glc
	s_waitcnt vmcnt(0)
	buffer_gl1_inv
	buffer_gl0_inv
	v_cmpx_ne_u64_e64 v[1:2], v[28:29]
	s_cbranch_execz .LBB6_2237
; %bb.2234:                             ;   in Loop: Header=BB6_2176 Depth=1
	s_mov_b32 s16, 0
.LBB6_2235:                             ;   Parent Loop BB6_2176 Depth=1
                                        ; =>  This Inner Loop Header: Depth=2
	s_sleep 1
	s_clause 0x1
	global_load_dwordx2 v[26:27], v11, s[6:7] offset:40
	global_load_dwordx2 v[36:37], v11, s[6:7]
	v_mov_b32_e32 v29, v2
	v_mov_b32_e32 v28, v1
	s_waitcnt vmcnt(1)
	v_and_b32_e32 v1, v26, v28
	v_and_b32_e32 v10, v27, v29
	s_waitcnt vmcnt(0)
	v_mad_u64_u32 v[1:2], null, v1, 24, v[36:37]
	v_mad_u64_u32 v[26:27], null, v10, 24, v[2:3]
	v_mov_b32_e32 v2, v26
	global_load_dwordx2 v[26:27], v[1:2], off glc dlc
	s_waitcnt vmcnt(0)
	global_atomic_cmpswap_x2 v[1:2], v11, v[26:29], s[6:7] offset:24 glc
	s_waitcnt vmcnt(0)
	buffer_gl1_inv
	buffer_gl0_inv
	v_cmp_eq_u64_e32 vcc_lo, v[1:2], v[28:29]
	s_or_b32 s16, vcc_lo, s16
	s_andn2_b32 exec_lo, exec_lo, s16
	s_cbranch_execnz .LBB6_2235
; %bb.2236:                             ;   in Loop: Header=BB6_2176 Depth=1
	s_or_b32 exec_lo, exec_lo, s16
.LBB6_2237:                             ;   in Loop: Header=BB6_2176 Depth=1
	s_or_b32 exec_lo, exec_lo, s15
.LBB6_2238:                             ;   in Loop: Header=BB6_2176 Depth=1
	s_or_b32 exec_lo, exec_lo, s14
	s_clause 0x1
	global_load_dwordx2 v[36:37], v11, s[6:7] offset:40
	global_load_dwordx4 v[26:29], v11, s[6:7]
	v_readfirstlane_b32 s15, v2
	v_readfirstlane_b32 s14, v1
	s_mov_b32 s18, exec_lo
	s_waitcnt vmcnt(1)
	v_readfirstlane_b32 s16, v36
	v_readfirstlane_b32 s17, v37
	s_and_b64 s[16:17], s[16:17], s[14:15]
	s_mul_i32 s19, s17, 24
	s_mul_hi_u32 s23, s16, 24
	s_mul_i32 s24, s16, 24
	s_add_i32 s23, s23, s19
	s_waitcnt vmcnt(0)
	v_add_co_u32 v1, vcc_lo, v26, s24
	v_add_co_ci_u32_e64 v2, null, s23, v27, vcc_lo
	s_and_saveexec_b32 s19, s5
	s_cbranch_execz .LBB6_2240
; %bb.2239:                             ;   in Loop: Header=BB6_2176 Depth=1
	v_mov_b32_e32 v10, s18
	global_store_dwordx4 v[1:2], v[10:13], off offset:8
.LBB6_2240:                             ;   in Loop: Header=BB6_2176 Depth=1
	s_or_b32 exec_lo, exec_lo, s19
	v_cmp_lt_u64_e64 vcc_lo, s[10:11], 57
	s_lshl_b64 s[16:17], s[16:17], 12
	v_and_b32_e32 v6, 0xffffff1f, v6
	v_cndmask_b32_e32 v10, 0, v35, vcc_lo
	v_add_co_u32 v28, vcc_lo, v28, s16
	v_add_co_ci_u32_e64 v29, null, s17, v29, vcc_lo
	v_or_b32_e32 v6, v6, v10
	s_lshl_b32 s16, s12, 2
	s_add_i32 s18, s16, 28
	v_readfirstlane_b32 s16, v28
	v_readfirstlane_b32 s17, v29
	v_and_or_b32 v6, 0x1e0, s18, v6
	global_store_dwordx4 v32, v[14:17], s[16:17] offset:16
	global_store_dwordx4 v32, v[6:9], s[16:17]
	global_store_dwordx4 v32, v[18:21], s[16:17] offset:32
	global_store_dwordx4 v32, v[22:25], s[16:17] offset:48
	s_and_saveexec_b32 s16, s5
	s_cbranch_execz .LBB6_2248
; %bb.2241:                             ;   in Loop: Header=BB6_2176 Depth=1
	s_clause 0x1
	global_load_dwordx2 v[18:19], v11, s[6:7] offset:32 glc dlc
	global_load_dwordx2 v[6:7], v11, s[6:7] offset:40
	v_mov_b32_e32 v16, s14
	v_mov_b32_e32 v17, s15
	s_waitcnt vmcnt(0)
	v_readfirstlane_b32 s18, v6
	v_readfirstlane_b32 s19, v7
	s_and_b64 s[18:19], s[18:19], s[14:15]
	s_mul_i32 s17, s19, 24
	s_mul_hi_u32 s19, s18, 24
	s_mul_i32 s18, s18, 24
	s_add_i32 s19, s19, s17
	v_add_co_u32 v14, vcc_lo, v26, s18
	v_add_co_ci_u32_e64 v15, null, s19, v27, vcc_lo
	s_mov_b32 s17, exec_lo
	global_store_dwordx2 v[14:15], v[18:19], off
	s_waitcnt_vscnt null, 0x0
	global_atomic_cmpswap_x2 v[8:9], v11, v[16:19], s[6:7] offset:32 glc
	s_waitcnt vmcnt(0)
	v_cmpx_ne_u64_e64 v[8:9], v[18:19]
	s_cbranch_execz .LBB6_2244
; %bb.2242:                             ;   in Loop: Header=BB6_2176 Depth=1
	s_mov_b32 s18, 0
.LBB6_2243:                             ;   Parent Loop BB6_2176 Depth=1
                                        ; =>  This Inner Loop Header: Depth=2
	v_mov_b32_e32 v6, s14
	v_mov_b32_e32 v7, s15
	s_sleep 1
	global_store_dwordx2 v[14:15], v[8:9], off
	s_waitcnt_vscnt null, 0x0
	global_atomic_cmpswap_x2 v[6:7], v11, v[6:9], s[6:7] offset:32 glc
	s_waitcnt vmcnt(0)
	v_cmp_eq_u64_e32 vcc_lo, v[6:7], v[8:9]
	v_mov_b32_e32 v9, v7
	v_mov_b32_e32 v8, v6
	s_or_b32 s18, vcc_lo, s18
	s_andn2_b32 exec_lo, exec_lo, s18
	s_cbranch_execnz .LBB6_2243
.LBB6_2244:                             ;   in Loop: Header=BB6_2176 Depth=1
	s_or_b32 exec_lo, exec_lo, s17
	global_load_dwordx2 v[6:7], v11, s[6:7] offset:16
	s_mov_b32 s18, exec_lo
	s_mov_b32 s17, exec_lo
	v_mbcnt_lo_u32_b32 v8, s18, 0
	v_cmpx_eq_u32_e32 0, v8
	s_cbranch_execz .LBB6_2246
; %bb.2245:                             ;   in Loop: Header=BB6_2176 Depth=1
	s_bcnt1_i32_b32 s18, s18
	v_mov_b32_e32 v10, s18
	s_waitcnt vmcnt(0)
	global_atomic_add_x2 v[6:7], v[10:11], off offset:8
.LBB6_2246:                             ;   in Loop: Header=BB6_2176 Depth=1
	s_or_b32 exec_lo, exec_lo, s17
	s_waitcnt vmcnt(0)
	global_load_dwordx2 v[8:9], v[6:7], off offset:16
	s_waitcnt vmcnt(0)
	v_cmp_eq_u64_e32 vcc_lo, 0, v[8:9]
	s_cbranch_vccnz .LBB6_2248
; %bb.2247:                             ;   in Loop: Header=BB6_2176 Depth=1
	global_load_dword v10, v[6:7], off offset:24
	s_waitcnt vmcnt(0)
	v_readfirstlane_b32 s17, v10
	s_waitcnt_vscnt null, 0x0
	global_store_dwordx2 v[8:9], v[10:11], off
	s_and_b32 m0, s17, 0x7fffff
	s_sendmsg sendmsg(MSG_INTERRUPT)
.LBB6_2248:                             ;   in Loop: Header=BB6_2176 Depth=1
	s_or_b32 exec_lo, exec_lo, s16
	v_add_co_u32 v6, vcc_lo, v28, v32
	v_add_co_ci_u32_e64 v7, null, 0, v29, vcc_lo
	s_branch .LBB6_2252
.LBB6_2249:                             ;   in Loop: Header=BB6_2252 Depth=2
	s_or_b32 exec_lo, exec_lo, s16
	v_readfirstlane_b32 s16, v8
	s_cmp_eq_u32 s16, 0
	s_cbranch_scc1 .LBB6_2251
; %bb.2250:                             ;   in Loop: Header=BB6_2252 Depth=2
	s_sleep 1
	s_cbranch_execnz .LBB6_2252
	s_branch .LBB6_2254
.LBB6_2251:                             ;   in Loop: Header=BB6_2176 Depth=1
	s_branch .LBB6_2254
.LBB6_2252:                             ;   Parent Loop BB6_2176 Depth=1
                                        ; =>  This Inner Loop Header: Depth=2
	v_mov_b32_e32 v8, 1
	s_and_saveexec_b32 s16, s5
	s_cbranch_execz .LBB6_2249
; %bb.2253:                             ;   in Loop: Header=BB6_2252 Depth=2
	global_load_dword v8, v[1:2], off offset:20 glc dlc
	s_waitcnt vmcnt(0)
	buffer_gl1_inv
	buffer_gl0_inv
	v_and_b32_e32 v8, 1, v8
	s_branch .LBB6_2249
.LBB6_2254:                             ;   in Loop: Header=BB6_2176 Depth=1
	global_load_dwordx2 v[6:7], v[6:7], off
	s_and_saveexec_b32 s16, s5
	s_cbranch_execz .LBB6_2175
; %bb.2255:                             ;   in Loop: Header=BB6_2176 Depth=1
	s_clause 0x2
	global_load_dwordx2 v[1:2], v11, s[6:7] offset:40
	global_load_dwordx2 v[18:19], v11, s[6:7] offset:24 glc dlc
	global_load_dwordx2 v[8:9], v11, s[6:7]
	s_waitcnt vmcnt(2)
	v_readfirstlane_b32 s18, v1
	v_readfirstlane_b32 s19, v2
	s_add_u32 s5, s18, 1
	s_addc_u32 s17, s19, 0
	s_add_u32 s14, s5, s14
	s_addc_u32 s15, s17, s15
	s_cmp_eq_u64 s[14:15], 0
	s_cselect_b32 s15, s17, s15
	s_cselect_b32 s14, s5, s14
	v_mov_b32_e32 v17, s15
	s_and_b64 s[18:19], s[14:15], s[18:19]
	v_mov_b32_e32 v16, s14
	s_mul_i32 s5, s19, 24
	s_mul_hi_u32 s17, s18, 24
	s_mul_i32 s18, s18, 24
	s_add_i32 s17, s17, s5
	s_waitcnt vmcnt(0)
	v_add_co_u32 v1, vcc_lo, v8, s18
	v_add_co_ci_u32_e64 v2, null, s17, v9, vcc_lo
	global_store_dwordx2 v[1:2], v[18:19], off
	s_waitcnt_vscnt null, 0x0
	global_atomic_cmpswap_x2 v[16:17], v11, v[16:19], s[6:7] offset:24 glc
	s_waitcnt vmcnt(0)
	v_cmp_ne_u64_e32 vcc_lo, v[16:17], v[18:19]
	s_and_b32 exec_lo, exec_lo, vcc_lo
	s_cbranch_execz .LBB6_2175
; %bb.2256:                             ;   in Loop: Header=BB6_2176 Depth=1
	s_mov_b32 s5, 0
.LBB6_2257:                             ;   Parent Loop BB6_2176 Depth=1
                                        ; =>  This Inner Loop Header: Depth=2
	v_mov_b32_e32 v14, s14
	v_mov_b32_e32 v15, s15
	s_sleep 1
	global_store_dwordx2 v[1:2], v[16:17], off
	s_waitcnt_vscnt null, 0x0
	global_atomic_cmpswap_x2 v[8:9], v11, v[14:17], s[6:7] offset:24 glc
	s_waitcnt vmcnt(0)
	v_cmp_eq_u64_e32 vcc_lo, v[8:9], v[16:17]
	v_mov_b32_e32 v17, v9
	v_mov_b32_e32 v16, v8
	s_or_b32 s5, vcc_lo, s5
	s_andn2_b32 exec_lo, exec_lo, s5
	s_cbranch_execnz .LBB6_2257
	s_branch .LBB6_2175
.LBB6_2258:
	s_mov_b32 s5, 0
	s_branch .LBB6_2260
.LBB6_2259:
	s_mov_b32 s5, -1
                                        ; implicit-def: $vgpr6_vgpr7
.LBB6_2260:
	s_and_b32 vcc_lo, exec_lo, s5
	s_cbranch_vccz .LBB6_2288
; %bb.2261:
	v_readfirstlane_b32 s5, v33
	v_mov_b32_e32 v1, 0
	v_mov_b32_e32 v2, 0
	v_cmp_eq_u32_e64 s5, s5, v33
	s_and_saveexec_b32 s8, s5
	s_cbranch_execz .LBB6_2267
; %bb.2262:
	s_waitcnt vmcnt(0)
	v_mov_b32_e32 v6, 0
	s_mov_b32 s9, exec_lo
	global_load_dwordx2 v[9:10], v6, s[6:7] offset:24 glc dlc
	s_waitcnt vmcnt(0)
	buffer_gl1_inv
	buffer_gl0_inv
	s_clause 0x1
	global_load_dwordx2 v[1:2], v6, s[6:7] offset:40
	global_load_dwordx2 v[7:8], v6, s[6:7]
	s_waitcnt vmcnt(1)
	v_and_b32_e32 v2, v2, v10
	v_and_b32_e32 v1, v1, v9
	v_mul_lo_u32 v2, v2, 24
	v_mul_hi_u32 v11, v1, 24
	v_mul_lo_u32 v1, v1, 24
	v_add_nc_u32_e32 v2, v11, v2
	s_waitcnt vmcnt(0)
	v_add_co_u32 v1, vcc_lo, v7, v1
	v_add_co_ci_u32_e64 v2, null, v8, v2, vcc_lo
	global_load_dwordx2 v[7:8], v[1:2], off glc dlc
	s_waitcnt vmcnt(0)
	global_atomic_cmpswap_x2 v[1:2], v6, v[7:10], s[6:7] offset:24 glc
	s_waitcnt vmcnt(0)
	buffer_gl1_inv
	buffer_gl0_inv
	v_cmpx_ne_u64_e64 v[1:2], v[9:10]
	s_cbranch_execz .LBB6_2266
; %bb.2263:
	s_mov_b32 s10, 0
.LBB6_2264:                             ; =>This Inner Loop Header: Depth=1
	s_sleep 1
	s_clause 0x1
	global_load_dwordx2 v[7:8], v6, s[6:7] offset:40
	global_load_dwordx2 v[11:12], v6, s[6:7]
	v_mov_b32_e32 v10, v2
	v_mov_b32_e32 v9, v1
	s_waitcnt vmcnt(1)
	v_and_b32_e32 v1, v7, v9
	v_and_b32_e32 v7, v8, v10
	s_waitcnt vmcnt(0)
	v_mad_u64_u32 v[1:2], null, v1, 24, v[11:12]
	v_mad_u64_u32 v[7:8], null, v7, 24, v[2:3]
	v_mov_b32_e32 v2, v7
	global_load_dwordx2 v[7:8], v[1:2], off glc dlc
	s_waitcnt vmcnt(0)
	global_atomic_cmpswap_x2 v[1:2], v6, v[7:10], s[6:7] offset:24 glc
	s_waitcnt vmcnt(0)
	buffer_gl1_inv
	buffer_gl0_inv
	v_cmp_eq_u64_e32 vcc_lo, v[1:2], v[9:10]
	s_or_b32 s10, vcc_lo, s10
	s_andn2_b32 exec_lo, exec_lo, s10
	s_cbranch_execnz .LBB6_2264
; %bb.2265:
	s_or_b32 exec_lo, exec_lo, s10
.LBB6_2266:
	s_or_b32 exec_lo, exec_lo, s9
.LBB6_2267:
	s_or_b32 exec_lo, exec_lo, s8
	s_waitcnt vmcnt(0)
	v_mov_b32_e32 v6, 0
	v_readfirstlane_b32 s9, v2
	v_readfirstlane_b32 s8, v1
	s_mov_b32 s12, exec_lo
	s_clause 0x1
	global_load_dwordx2 v[12:13], v6, s[6:7] offset:40
	global_load_dwordx4 v[8:11], v6, s[6:7]
	s_waitcnt vmcnt(1)
	v_readfirstlane_b32 s10, v12
	v_readfirstlane_b32 s11, v13
	s_and_b64 s[10:11], s[10:11], s[8:9]
	s_mul_i32 s13, s11, 24
	s_mul_hi_u32 s14, s10, 24
	s_mul_i32 s15, s10, 24
	s_add_i32 s14, s14, s13
	s_waitcnt vmcnt(0)
	v_add_co_u32 v1, vcc_lo, v8, s15
	v_add_co_ci_u32_e64 v2, null, s14, v9, vcc_lo
	s_and_saveexec_b32 s13, s5
	s_cbranch_execz .LBB6_2269
; %bb.2268:
	v_mov_b32_e32 v12, s12
	v_mov_b32_e32 v13, v6
	;; [unrolled: 1-line block ×4, first 2 shown]
	global_store_dwordx4 v[1:2], v[12:15], off offset:8
.LBB6_2269:
	s_or_b32 exec_lo, exec_lo, s13
	s_lshl_b64 s[10:11], s[10:11], 12
	s_mov_b32 s12, 0
	v_add_co_u32 v10, vcc_lo, v10, s10
	v_add_co_ci_u32_e64 v11, null, s11, v11, vcc_lo
	s_mov_b32 s13, s12
	v_readfirstlane_b32 s10, v10
	v_add_co_u32 v10, vcc_lo, v10, v32
	s_mov_b32 s14, s12
	s_mov_b32 s15, s12
	v_and_or_b32 v4, 0xffffff1f, v4, 32
	v_mov_b32_e32 v7, v6
	v_readfirstlane_b32 s11, v11
	v_mov_b32_e32 v12, s12
	v_add_co_ci_u32_e64 v11, null, 0, v11, vcc_lo
	v_mov_b32_e32 v13, s13
	v_mov_b32_e32 v14, s14
	;; [unrolled: 1-line block ×3, first 2 shown]
	global_store_dwordx4 v32, v[4:7], s[10:11]
	global_store_dwordx4 v32, v[12:15], s[10:11] offset:16
	global_store_dwordx4 v32, v[12:15], s[10:11] offset:32
	;; [unrolled: 1-line block ×3, first 2 shown]
	s_and_saveexec_b32 s10, s5
	s_cbranch_execz .LBB6_2277
; %bb.2270:
	v_mov_b32_e32 v12, 0
	v_mov_b32_e32 v13, s8
	;; [unrolled: 1-line block ×3, first 2 shown]
	s_clause 0x1
	global_load_dwordx2 v[15:16], v12, s[6:7] offset:32 glc dlc
	global_load_dwordx2 v[4:5], v12, s[6:7] offset:40
	s_waitcnt vmcnt(0)
	v_readfirstlane_b32 s12, v4
	v_readfirstlane_b32 s13, v5
	s_and_b64 s[12:13], s[12:13], s[8:9]
	s_mul_i32 s11, s13, 24
	s_mul_hi_u32 s13, s12, 24
	s_mul_i32 s12, s12, 24
	s_add_i32 s13, s13, s11
	v_add_co_u32 v8, vcc_lo, v8, s12
	v_add_co_ci_u32_e64 v9, null, s13, v9, vcc_lo
	s_mov_b32 s11, exec_lo
	global_store_dwordx2 v[8:9], v[15:16], off
	s_waitcnt_vscnt null, 0x0
	global_atomic_cmpswap_x2 v[6:7], v12, v[13:16], s[6:7] offset:32 glc
	s_waitcnt vmcnt(0)
	v_cmpx_ne_u64_e64 v[6:7], v[15:16]
	s_cbranch_execz .LBB6_2273
; %bb.2271:
	s_mov_b32 s12, 0
.LBB6_2272:                             ; =>This Inner Loop Header: Depth=1
	v_mov_b32_e32 v4, s8
	v_mov_b32_e32 v5, s9
	s_sleep 1
	global_store_dwordx2 v[8:9], v[6:7], off
	s_waitcnt_vscnt null, 0x0
	global_atomic_cmpswap_x2 v[4:5], v12, v[4:7], s[6:7] offset:32 glc
	s_waitcnt vmcnt(0)
	v_cmp_eq_u64_e32 vcc_lo, v[4:5], v[6:7]
	v_mov_b32_e32 v7, v5
	v_mov_b32_e32 v6, v4
	s_or_b32 s12, vcc_lo, s12
	s_andn2_b32 exec_lo, exec_lo, s12
	s_cbranch_execnz .LBB6_2272
.LBB6_2273:
	s_or_b32 exec_lo, exec_lo, s11
	v_mov_b32_e32 v7, 0
	s_mov_b32 s12, exec_lo
	s_mov_b32 s11, exec_lo
	v_mbcnt_lo_u32_b32 v6, s12, 0
	global_load_dwordx2 v[4:5], v7, s[6:7] offset:16
	v_cmpx_eq_u32_e32 0, v6
	s_cbranch_execz .LBB6_2275
; %bb.2274:
	s_bcnt1_i32_b32 s12, s12
	v_mov_b32_e32 v6, s12
	s_waitcnt vmcnt(0)
	global_atomic_add_x2 v[4:5], v[6:7], off offset:8
.LBB6_2275:
	s_or_b32 exec_lo, exec_lo, s11
	s_waitcnt vmcnt(0)
	global_load_dwordx2 v[6:7], v[4:5], off offset:16
	s_waitcnt vmcnt(0)
	v_cmp_eq_u64_e32 vcc_lo, 0, v[6:7]
	s_cbranch_vccnz .LBB6_2277
; %bb.2276:
	global_load_dword v4, v[4:5], off offset:24
	v_mov_b32_e32 v5, 0
	s_waitcnt vmcnt(0)
	v_readfirstlane_b32 s11, v4
	s_waitcnt_vscnt null, 0x0
	global_store_dwordx2 v[6:7], v[4:5], off
	s_and_b32 m0, s11, 0x7fffff
	s_sendmsg sendmsg(MSG_INTERRUPT)
.LBB6_2277:
	s_or_b32 exec_lo, exec_lo, s10
	s_branch .LBB6_2281
.LBB6_2278:                             ;   in Loop: Header=BB6_2281 Depth=1
	s_or_b32 exec_lo, exec_lo, s10
	v_readfirstlane_b32 s10, v4
	s_cmp_eq_u32 s10, 0
	s_cbranch_scc1 .LBB6_2280
; %bb.2279:                             ;   in Loop: Header=BB6_2281 Depth=1
	s_sleep 1
	s_cbranch_execnz .LBB6_2281
	s_branch .LBB6_2283
.LBB6_2280:
	s_branch .LBB6_2283
.LBB6_2281:                             ; =>This Inner Loop Header: Depth=1
	v_mov_b32_e32 v4, 1
	s_and_saveexec_b32 s10, s5
	s_cbranch_execz .LBB6_2278
; %bb.2282:                             ;   in Loop: Header=BB6_2281 Depth=1
	global_load_dword v4, v[1:2], off offset:20 glc dlc
	s_waitcnt vmcnt(0)
	buffer_gl1_inv
	buffer_gl0_inv
	v_and_b32_e32 v4, 1, v4
	s_branch .LBB6_2278
.LBB6_2283:
	global_load_dwordx2 v[6:7], v[10:11], off
	s_and_saveexec_b32 s10, s5
	s_cbranch_execz .LBB6_2287
; %bb.2284:
	v_mov_b32_e32 v4, 0
	s_clause 0x2
	global_load_dwordx2 v[1:2], v4, s[6:7] offset:40
	global_load_dwordx2 v[12:13], v4, s[6:7] offset:24 glc dlc
	global_load_dwordx2 v[8:9], v4, s[6:7]
	s_waitcnt vmcnt(2)
	v_readfirstlane_b32 s12, v1
	v_readfirstlane_b32 s13, v2
	s_add_u32 s5, s12, 1
	s_addc_u32 s11, s13, 0
	s_add_u32 s8, s5, s8
	s_addc_u32 s9, s11, s9
	s_cmp_eq_u64 s[8:9], 0
	s_cselect_b32 s9, s11, s9
	s_cselect_b32 s8, s5, s8
	v_mov_b32_e32 v11, s9
	s_and_b64 s[12:13], s[8:9], s[12:13]
	v_mov_b32_e32 v10, s8
	s_mul_i32 s5, s13, 24
	s_mul_hi_u32 s11, s12, 24
	s_mul_i32 s12, s12, 24
	s_add_i32 s11, s11, s5
	s_waitcnt vmcnt(0)
	v_add_co_u32 v1, vcc_lo, v8, s12
	v_add_co_ci_u32_e64 v2, null, s11, v9, vcc_lo
	global_store_dwordx2 v[1:2], v[12:13], off
	s_waitcnt_vscnt null, 0x0
	global_atomic_cmpswap_x2 v[10:11], v4, v[10:13], s[6:7] offset:24 glc
	s_waitcnt vmcnt(0)
	v_cmp_ne_u64_e32 vcc_lo, v[10:11], v[12:13]
	s_and_b32 exec_lo, exec_lo, vcc_lo
	s_cbranch_execz .LBB6_2287
; %bb.2285:
	s_mov_b32 s5, 0
.LBB6_2286:                             ; =>This Inner Loop Header: Depth=1
	v_mov_b32_e32 v8, s8
	v_mov_b32_e32 v9, s9
	s_sleep 1
	global_store_dwordx2 v[1:2], v[10:11], off
	s_waitcnt_vscnt null, 0x0
	global_atomic_cmpswap_x2 v[8:9], v4, v[8:11], s[6:7] offset:24 glc
	s_waitcnt vmcnt(0)
	v_cmp_eq_u64_e32 vcc_lo, v[8:9], v[10:11]
	v_mov_b32_e32 v11, v9
	v_mov_b32_e32 v10, v8
	s_or_b32 s5, vcc_lo, s5
	s_andn2_b32 exec_lo, exec_lo, s5
	s_cbranch_execnz .LBB6_2286
.LBB6_2287:
	s_or_b32 exec_lo, exec_lo, s10
.LBB6_2288:
	v_readfirstlane_b32 s5, v33
	v_mov_b32_e32 v1, 0
	v_mov_b32_e32 v2, 0
	v_cmp_eq_u32_e64 s5, s5, v33
	s_and_saveexec_b32 s8, s5
	s_cbranch_execz .LBB6_2294
; %bb.2289:
	s_waitcnt vmcnt(0)
	v_mov_b32_e32 v4, 0
	s_mov_b32 s9, exec_lo
	global_load_dwordx2 v[10:11], v4, s[6:7] offset:24 glc dlc
	s_waitcnt vmcnt(0)
	buffer_gl1_inv
	buffer_gl0_inv
	s_clause 0x1
	global_load_dwordx2 v[1:2], v4, s[6:7] offset:40
	global_load_dwordx2 v[8:9], v4, s[6:7]
	s_waitcnt vmcnt(1)
	v_and_b32_e32 v2, v2, v11
	v_and_b32_e32 v1, v1, v10
	v_mul_lo_u32 v2, v2, 24
	v_mul_hi_u32 v5, v1, 24
	v_mul_lo_u32 v1, v1, 24
	v_add_nc_u32_e32 v2, v5, v2
	s_waitcnt vmcnt(0)
	v_add_co_u32 v1, vcc_lo, v8, v1
	v_add_co_ci_u32_e64 v2, null, v9, v2, vcc_lo
	global_load_dwordx2 v[8:9], v[1:2], off glc dlc
	s_waitcnt vmcnt(0)
	global_atomic_cmpswap_x2 v[1:2], v4, v[8:11], s[6:7] offset:24 glc
	s_waitcnt vmcnt(0)
	buffer_gl1_inv
	buffer_gl0_inv
	v_cmpx_ne_u64_e64 v[1:2], v[10:11]
	s_cbranch_execz .LBB6_2293
; %bb.2290:
	s_mov_b32 s10, 0
.LBB6_2291:                             ; =>This Inner Loop Header: Depth=1
	s_sleep 1
	s_clause 0x1
	global_load_dwordx2 v[8:9], v4, s[6:7] offset:40
	global_load_dwordx2 v[12:13], v4, s[6:7]
	v_mov_b32_e32 v11, v2
	v_mov_b32_e32 v10, v1
	s_waitcnt vmcnt(1)
	v_and_b32_e32 v1, v8, v10
	v_and_b32_e32 v5, v9, v11
	s_waitcnt vmcnt(0)
	v_mad_u64_u32 v[1:2], null, v1, 24, v[12:13]
	v_mad_u64_u32 v[8:9], null, v5, 24, v[2:3]
	v_mov_b32_e32 v2, v8
	global_load_dwordx2 v[8:9], v[1:2], off glc dlc
	s_waitcnt vmcnt(0)
	global_atomic_cmpswap_x2 v[1:2], v4, v[8:11], s[6:7] offset:24 glc
	s_waitcnt vmcnt(0)
	buffer_gl1_inv
	buffer_gl0_inv
	v_cmp_eq_u64_e32 vcc_lo, v[1:2], v[10:11]
	s_or_b32 s10, vcc_lo, s10
	s_andn2_b32 exec_lo, exec_lo, s10
	s_cbranch_execnz .LBB6_2291
; %bb.2292:
	s_or_b32 exec_lo, exec_lo, s10
.LBB6_2293:
	s_or_b32 exec_lo, exec_lo, s9
.LBB6_2294:
	s_or_b32 exec_lo, exec_lo, s8
	v_mov_b32_e32 v9, 0
	v_readfirstlane_b32 s9, v2
	v_readfirstlane_b32 s8, v1
	s_mov_b32 s12, exec_lo
	s_clause 0x1
	global_load_dwordx2 v[4:5], v9, s[6:7] offset:40
	global_load_dwordx4 v[10:13], v9, s[6:7]
	s_waitcnt vmcnt(1)
	v_readfirstlane_b32 s10, v4
	v_readfirstlane_b32 s11, v5
	s_and_b64 s[10:11], s[10:11], s[8:9]
	s_mul_i32 s13, s11, 24
	s_mul_hi_u32 s14, s10, 24
	s_mul_i32 s15, s10, 24
	s_add_i32 s14, s14, s13
	s_waitcnt vmcnt(0)
	v_add_co_u32 v1, vcc_lo, v10, s15
	v_add_co_ci_u32_e64 v2, null, s14, v11, vcc_lo
	s_and_saveexec_b32 s13, s5
	s_cbranch_execz .LBB6_2296
; %bb.2295:
	v_mov_b32_e32 v8, s12
	v_mov_b32_e32 v15, v9
	;; [unrolled: 1-line block ×5, first 2 shown]
	global_store_dwordx4 v[1:2], v[14:17], off offset:8
.LBB6_2296:
	s_or_b32 exec_lo, exec_lo, s13
	s_lshl_b64 s[10:11], s[10:11], 12
	s_mov_b32 s12, 0
	v_add_co_u32 v4, vcc_lo, v12, s10
	v_add_co_ci_u32_e64 v5, null, s11, v13, vcc_lo
	s_mov_b32 s15, s12
	v_add_co_u32 v12, vcc_lo, v4, v32
	s_mov_b32 s13, s12
	s_mov_b32 s14, s12
	v_and_or_b32 v6, 0xffffff1f, v6, 32
	v_mov_b32_e32 v8, v34
	v_readfirstlane_b32 s10, v4
	v_readfirstlane_b32 s11, v5
	v_mov_b32_e32 v17, s15
	v_add_co_ci_u32_e64 v13, null, 0, v5, vcc_lo
	v_mov_b32_e32 v16, s14
	v_mov_b32_e32 v15, s13
	;; [unrolled: 1-line block ×3, first 2 shown]
	global_store_dwordx4 v32, v[6:9], s[10:11]
	global_store_dwordx4 v32, v[14:17], s[10:11] offset:16
	global_store_dwordx4 v32, v[14:17], s[10:11] offset:32
	;; [unrolled: 1-line block ×3, first 2 shown]
	s_and_saveexec_b32 s10, s5
	s_cbranch_execz .LBB6_2304
; %bb.2297:
	v_mov_b32_e32 v14, 0
	v_mov_b32_e32 v15, s8
	;; [unrolled: 1-line block ×3, first 2 shown]
	s_clause 0x1
	global_load_dwordx2 v[17:18], v14, s[6:7] offset:32 glc dlc
	global_load_dwordx2 v[4:5], v14, s[6:7] offset:40
	s_waitcnt vmcnt(0)
	v_readfirstlane_b32 s12, v4
	v_readfirstlane_b32 s13, v5
	s_and_b64 s[12:13], s[12:13], s[8:9]
	s_mul_i32 s11, s13, 24
	s_mul_hi_u32 s13, s12, 24
	s_mul_i32 s12, s12, 24
	s_add_i32 s13, s13, s11
	v_add_co_u32 v8, vcc_lo, v10, s12
	v_add_co_ci_u32_e64 v9, null, s13, v11, vcc_lo
	s_mov_b32 s11, exec_lo
	global_store_dwordx2 v[8:9], v[17:18], off
	s_waitcnt_vscnt null, 0x0
	global_atomic_cmpswap_x2 v[6:7], v14, v[15:18], s[6:7] offset:32 glc
	s_waitcnt vmcnt(0)
	v_cmpx_ne_u64_e64 v[6:7], v[17:18]
	s_cbranch_execz .LBB6_2300
; %bb.2298:
	s_mov_b32 s12, 0
.LBB6_2299:                             ; =>This Inner Loop Header: Depth=1
	v_mov_b32_e32 v4, s8
	v_mov_b32_e32 v5, s9
	s_sleep 1
	global_store_dwordx2 v[8:9], v[6:7], off
	s_waitcnt_vscnt null, 0x0
	global_atomic_cmpswap_x2 v[4:5], v14, v[4:7], s[6:7] offset:32 glc
	s_waitcnt vmcnt(0)
	v_cmp_eq_u64_e32 vcc_lo, v[4:5], v[6:7]
	v_mov_b32_e32 v7, v5
	v_mov_b32_e32 v6, v4
	s_or_b32 s12, vcc_lo, s12
	s_andn2_b32 exec_lo, exec_lo, s12
	s_cbranch_execnz .LBB6_2299
.LBB6_2300:
	s_or_b32 exec_lo, exec_lo, s11
	v_mov_b32_e32 v7, 0
	s_mov_b32 s12, exec_lo
	s_mov_b32 s11, exec_lo
	v_mbcnt_lo_u32_b32 v6, s12, 0
	global_load_dwordx2 v[4:5], v7, s[6:7] offset:16
	v_cmpx_eq_u32_e32 0, v6
	s_cbranch_execz .LBB6_2302
; %bb.2301:
	s_bcnt1_i32_b32 s12, s12
	v_mov_b32_e32 v6, s12
	s_waitcnt vmcnt(0)
	global_atomic_add_x2 v[4:5], v[6:7], off offset:8
.LBB6_2302:
	s_or_b32 exec_lo, exec_lo, s11
	s_waitcnt vmcnt(0)
	global_load_dwordx2 v[6:7], v[4:5], off offset:16
	s_waitcnt vmcnt(0)
	v_cmp_eq_u64_e32 vcc_lo, 0, v[6:7]
	s_cbranch_vccnz .LBB6_2304
; %bb.2303:
	global_load_dword v4, v[4:5], off offset:24
	v_mov_b32_e32 v5, 0
	s_waitcnt vmcnt(0)
	v_readfirstlane_b32 s11, v4
	s_waitcnt_vscnt null, 0x0
	global_store_dwordx2 v[6:7], v[4:5], off
	s_and_b32 m0, s11, 0x7fffff
	s_sendmsg sendmsg(MSG_INTERRUPT)
.LBB6_2304:
	s_or_b32 exec_lo, exec_lo, s10
	s_branch .LBB6_2308
.LBB6_2305:                             ;   in Loop: Header=BB6_2308 Depth=1
	s_or_b32 exec_lo, exec_lo, s10
	v_readfirstlane_b32 s10, v4
	s_cmp_eq_u32 s10, 0
	s_cbranch_scc1 .LBB6_2307
; %bb.2306:                             ;   in Loop: Header=BB6_2308 Depth=1
	s_sleep 1
	s_cbranch_execnz .LBB6_2308
	s_branch .LBB6_2310
.LBB6_2307:
	s_branch .LBB6_2310
.LBB6_2308:                             ; =>This Inner Loop Header: Depth=1
	v_mov_b32_e32 v4, 1
	s_and_saveexec_b32 s10, s5
	s_cbranch_execz .LBB6_2305
; %bb.2309:                             ;   in Loop: Header=BB6_2308 Depth=1
	global_load_dword v4, v[1:2], off offset:20 glc dlc
	s_waitcnt vmcnt(0)
	buffer_gl1_inv
	buffer_gl0_inv
	v_and_b32_e32 v4, 1, v4
	s_branch .LBB6_2305
.LBB6_2310:
	global_load_dwordx2 v[1:2], v[12:13], off
	s_and_saveexec_b32 s10, s5
	s_cbranch_execz .LBB6_2314
; %bb.2311:
	v_mov_b32_e32 v10, 0
	s_clause 0x2
	global_load_dwordx2 v[4:5], v10, s[6:7] offset:40
	global_load_dwordx2 v[13:14], v10, s[6:7] offset:24 glc dlc
	global_load_dwordx2 v[6:7], v10, s[6:7]
	s_waitcnt vmcnt(2)
	v_readfirstlane_b32 s12, v4
	v_readfirstlane_b32 s13, v5
	s_add_u32 s5, s12, 1
	s_addc_u32 s11, s13, 0
	s_add_u32 s8, s5, s8
	s_addc_u32 s9, s11, s9
	s_cmp_eq_u64 s[8:9], 0
	s_cselect_b32 s9, s11, s9
	s_cselect_b32 s8, s5, s8
	v_mov_b32_e32 v12, s9
	s_and_b64 s[12:13], s[8:9], s[12:13]
	v_mov_b32_e32 v11, s8
	s_mul_i32 s5, s13, 24
	s_mul_hi_u32 s11, s12, 24
	s_mul_i32 s12, s12, 24
	s_add_i32 s11, s11, s5
	s_waitcnt vmcnt(0)
	v_add_co_u32 v8, vcc_lo, v6, s12
	v_add_co_ci_u32_e64 v9, null, s11, v7, vcc_lo
	global_store_dwordx2 v[8:9], v[13:14], off
	s_waitcnt_vscnt null, 0x0
	global_atomic_cmpswap_x2 v[6:7], v10, v[11:14], s[6:7] offset:24 glc
	s_waitcnt vmcnt(0)
	v_cmp_ne_u64_e32 vcc_lo, v[6:7], v[13:14]
	s_and_b32 exec_lo, exec_lo, vcc_lo
	s_cbranch_execz .LBB6_2314
; %bb.2312:
	s_mov_b32 s5, 0
.LBB6_2313:                             ; =>This Inner Loop Header: Depth=1
	v_mov_b32_e32 v4, s8
	v_mov_b32_e32 v5, s9
	s_sleep 1
	global_store_dwordx2 v[8:9], v[6:7], off
	s_waitcnt_vscnt null, 0x0
	global_atomic_cmpswap_x2 v[4:5], v10, v[4:7], s[6:7] offset:24 glc
	s_waitcnt vmcnt(0)
	v_cmp_eq_u64_e32 vcc_lo, v[4:5], v[6:7]
	v_mov_b32_e32 v7, v5
	v_mov_b32_e32 v6, v4
	s_or_b32 s5, vcc_lo, s5
	s_andn2_b32 exec_lo, exec_lo, s5
	s_cbranch_execnz .LBB6_2313
.LBB6_2314:
	s_or_b32 exec_lo, exec_lo, s10
	v_readfirstlane_b32 s5, v33
	v_mov_b32_e32 v9, 0
	v_mov_b32_e32 v10, 0
	v_cmp_eq_u32_e64 s5, s5, v33
	s_and_saveexec_b32 s8, s5
	s_cbranch_execz .LBB6_2320
; %bb.2315:
	v_mov_b32_e32 v4, 0
	s_mov_b32 s9, exec_lo
	global_load_dwordx2 v[7:8], v4, s[6:7] offset:24 glc dlc
	s_waitcnt vmcnt(0)
	buffer_gl1_inv
	buffer_gl0_inv
	s_clause 0x1
	global_load_dwordx2 v[5:6], v4, s[6:7] offset:40
	global_load_dwordx2 v[9:10], v4, s[6:7]
	s_waitcnt vmcnt(1)
	v_and_b32_e32 v6, v6, v8
	v_and_b32_e32 v5, v5, v7
	v_mul_lo_u32 v6, v6, 24
	v_mul_hi_u32 v11, v5, 24
	v_mul_lo_u32 v5, v5, 24
	v_add_nc_u32_e32 v6, v11, v6
	s_waitcnt vmcnt(0)
	v_add_co_u32 v5, vcc_lo, v9, v5
	v_add_co_ci_u32_e64 v6, null, v10, v6, vcc_lo
	global_load_dwordx2 v[5:6], v[5:6], off glc dlc
	s_waitcnt vmcnt(0)
	global_atomic_cmpswap_x2 v[9:10], v4, v[5:8], s[6:7] offset:24 glc
	s_waitcnt vmcnt(0)
	buffer_gl1_inv
	buffer_gl0_inv
	v_cmpx_ne_u64_e64 v[9:10], v[7:8]
	s_cbranch_execz .LBB6_2319
; %bb.2316:
	s_mov_b32 s10, 0
.LBB6_2317:                             ; =>This Inner Loop Header: Depth=1
	s_sleep 1
	s_clause 0x1
	global_load_dwordx2 v[5:6], v4, s[6:7] offset:40
	global_load_dwordx2 v[11:12], v4, s[6:7]
	v_mov_b32_e32 v7, v9
	v_mov_b32_e32 v8, v10
	s_waitcnt vmcnt(1)
	v_and_b32_e32 v5, v5, v7
	v_and_b32_e32 v6, v6, v8
	s_waitcnt vmcnt(0)
	v_mad_u64_u32 v[9:10], null, v5, 24, v[11:12]
	v_mov_b32_e32 v5, v10
	v_mad_u64_u32 v[5:6], null, v6, 24, v[5:6]
	v_mov_b32_e32 v10, v5
	global_load_dwordx2 v[5:6], v[9:10], off glc dlc
	s_waitcnt vmcnt(0)
	global_atomic_cmpswap_x2 v[9:10], v4, v[5:8], s[6:7] offset:24 glc
	s_waitcnt vmcnt(0)
	buffer_gl1_inv
	buffer_gl0_inv
	v_cmp_eq_u64_e32 vcc_lo, v[9:10], v[7:8]
	s_or_b32 s10, vcc_lo, s10
	s_andn2_b32 exec_lo, exec_lo, s10
	s_cbranch_execnz .LBB6_2317
; %bb.2318:
	s_or_b32 exec_lo, exec_lo, s10
.LBB6_2319:
	s_or_b32 exec_lo, exec_lo, s9
.LBB6_2320:
	s_or_b32 exec_lo, exec_lo, s8
	v_mov_b32_e32 v4, 0
	v_readfirstlane_b32 s9, v10
	v_readfirstlane_b32 s8, v9
	s_mov_b32 s12, exec_lo
	s_clause 0x1
	global_load_dwordx2 v[11:12], v4, s[6:7] offset:40
	global_load_dwordx4 v[5:8], v4, s[6:7]
	s_waitcnt vmcnt(1)
	v_readfirstlane_b32 s10, v11
	v_readfirstlane_b32 s11, v12
	s_and_b64 s[10:11], s[10:11], s[8:9]
	s_mul_i32 s13, s11, 24
	s_mul_hi_u32 s14, s10, 24
	s_mul_i32 s15, s10, 24
	s_add_i32 s14, s14, s13
	s_waitcnt vmcnt(0)
	v_add_co_u32 v9, vcc_lo, v5, s15
	v_add_co_ci_u32_e64 v10, null, s14, v6, vcc_lo
	s_and_saveexec_b32 s13, s5
	s_cbranch_execz .LBB6_2322
; %bb.2321:
	v_mov_b32_e32 v11, s12
	v_mov_b32_e32 v12, v4
	;; [unrolled: 1-line block ×4, first 2 shown]
	global_store_dwordx4 v[9:10], v[11:14], off offset:8
.LBB6_2322:
	s_or_b32 exec_lo, exec_lo, s13
	s_lshl_b64 s[10:11], s[10:11], 12
	s_mov_b32 s12, 0
	v_add_co_u32 v7, vcc_lo, v7, s10
	v_add_co_ci_u32_e64 v8, null, s11, v8, vcc_lo
	s_mov_b32 s13, s12
	s_mov_b32 s14, s12
	;; [unrolled: 1-line block ×3, first 2 shown]
	v_and_or_b32 v1, 0xffffff1d, v1, 34
	v_readfirstlane_b32 s10, v7
	v_readfirstlane_b32 s11, v8
	v_mov_b32_e32 v11, s12
	v_mov_b32_e32 v12, s13
	;; [unrolled: 1-line block ×4, first 2 shown]
	global_store_dwordx4 v32, v[1:4], s[10:11]
	global_store_dwordx4 v32, v[11:14], s[10:11] offset:16
	global_store_dwordx4 v32, v[11:14], s[10:11] offset:32
	;; [unrolled: 1-line block ×3, first 2 shown]
	s_and_saveexec_b32 s10, s5
	s_cbranch_execz .LBB6_2330
; %bb.2323:
	v_mov_b32_e32 v7, 0
	v_mov_b32_e32 v11, s8
	;; [unrolled: 1-line block ×3, first 2 shown]
	s_clause 0x1
	global_load_dwordx2 v[13:14], v7, s[6:7] offset:32 glc dlc
	global_load_dwordx2 v[1:2], v7, s[6:7] offset:40
	s_waitcnt vmcnt(0)
	v_readfirstlane_b32 s12, v1
	v_readfirstlane_b32 s13, v2
	s_and_b64 s[12:13], s[12:13], s[8:9]
	s_mul_i32 s11, s13, 24
	s_mul_hi_u32 s13, s12, 24
	s_mul_i32 s12, s12, 24
	s_add_i32 s13, s13, s11
	v_add_co_u32 v5, vcc_lo, v5, s12
	v_add_co_ci_u32_e64 v6, null, s13, v6, vcc_lo
	s_mov_b32 s11, exec_lo
	global_store_dwordx2 v[5:6], v[13:14], off
	s_waitcnt_vscnt null, 0x0
	global_atomic_cmpswap_x2 v[3:4], v7, v[11:14], s[6:7] offset:32 glc
	s_waitcnt vmcnt(0)
	v_cmpx_ne_u64_e64 v[3:4], v[13:14]
	s_cbranch_execz .LBB6_2326
; %bb.2324:
	s_mov_b32 s12, 0
.LBB6_2325:                             ; =>This Inner Loop Header: Depth=1
	v_mov_b32_e32 v1, s8
	v_mov_b32_e32 v2, s9
	s_sleep 1
	global_store_dwordx2 v[5:6], v[3:4], off
	s_waitcnt_vscnt null, 0x0
	global_atomic_cmpswap_x2 v[1:2], v7, v[1:4], s[6:7] offset:32 glc
	s_waitcnt vmcnt(0)
	v_cmp_eq_u64_e32 vcc_lo, v[1:2], v[3:4]
	v_mov_b32_e32 v4, v2
	v_mov_b32_e32 v3, v1
	s_or_b32 s12, vcc_lo, s12
	s_andn2_b32 exec_lo, exec_lo, s12
	s_cbranch_execnz .LBB6_2325
.LBB6_2326:
	s_or_b32 exec_lo, exec_lo, s11
	v_mov_b32_e32 v4, 0
	s_mov_b32 s12, exec_lo
	s_mov_b32 s11, exec_lo
	v_mbcnt_lo_u32_b32 v3, s12, 0
	global_load_dwordx2 v[1:2], v4, s[6:7] offset:16
	v_cmpx_eq_u32_e32 0, v3
	s_cbranch_execz .LBB6_2328
; %bb.2327:
	s_bcnt1_i32_b32 s12, s12
	v_mov_b32_e32 v3, s12
	s_waitcnt vmcnt(0)
	global_atomic_add_x2 v[1:2], v[3:4], off offset:8
.LBB6_2328:
	s_or_b32 exec_lo, exec_lo, s11
	s_waitcnt vmcnt(0)
	global_load_dwordx2 v[3:4], v[1:2], off offset:16
	s_waitcnt vmcnt(0)
	v_cmp_eq_u64_e32 vcc_lo, 0, v[3:4]
	s_cbranch_vccnz .LBB6_2330
; %bb.2329:
	global_load_dword v1, v[1:2], off offset:24
	v_mov_b32_e32 v2, 0
	s_waitcnt vmcnt(0)
	v_readfirstlane_b32 s11, v1
	s_waitcnt_vscnt null, 0x0
	global_store_dwordx2 v[3:4], v[1:2], off
	s_and_b32 m0, s11, 0x7fffff
	s_sendmsg sendmsg(MSG_INTERRUPT)
.LBB6_2330:
	s_or_b32 exec_lo, exec_lo, s10
	s_branch .LBB6_2334
.LBB6_2331:                             ;   in Loop: Header=BB6_2334 Depth=1
	s_or_b32 exec_lo, exec_lo, s10
	v_readfirstlane_b32 s10, v1
	s_cmp_eq_u32 s10, 0
	s_cbranch_scc1 .LBB6_2333
; %bb.2332:                             ;   in Loop: Header=BB6_2334 Depth=1
	s_sleep 1
	s_cbranch_execnz .LBB6_2334
	s_branch .LBB6_2336
.LBB6_2333:
	s_branch .LBB6_2336
.LBB6_2334:                             ; =>This Inner Loop Header: Depth=1
	v_mov_b32_e32 v1, 1
	s_and_saveexec_b32 s10, s5
	s_cbranch_execz .LBB6_2331
; %bb.2335:                             ;   in Loop: Header=BB6_2334 Depth=1
	global_load_dword v1, v[9:10], off offset:20 glc dlc
	s_waitcnt vmcnt(0)
	buffer_gl1_inv
	buffer_gl0_inv
	v_and_b32_e32 v1, 1, v1
	s_branch .LBB6_2331
.LBB6_2336:
	s_and_b32 exec_lo, exec_lo, s5
	s_cbranch_execz .LBB6_2340
; %bb.2337:
	v_mov_b32_e32 v7, 0
	s_clause 0x2
	global_load_dwordx2 v[1:2], v7, s[6:7] offset:40
	global_load_dwordx2 v[10:11], v7, s[6:7] offset:24 glc dlc
	global_load_dwordx2 v[3:4], v7, s[6:7]
	s_waitcnt vmcnt(2)
	v_readfirstlane_b32 s10, v1
	v_readfirstlane_b32 s11, v2
	s_add_u32 s5, s10, 1
	s_addc_u32 s12, s11, 0
	s_add_u32 s8, s5, s8
	s_addc_u32 s9, s12, s9
	s_cmp_eq_u64 s[8:9], 0
	s_cselect_b32 s9, s12, s9
	s_cselect_b32 s8, s5, s8
	v_mov_b32_e32 v9, s9
	s_and_b64 s[10:11], s[8:9], s[10:11]
	v_mov_b32_e32 v8, s8
	s_mul_i32 s5, s11, 24
	s_mul_hi_u32 s11, s10, 24
	s_mul_i32 s10, s10, 24
	s_add_i32 s11, s11, s5
	s_waitcnt vmcnt(0)
	v_add_co_u32 v5, vcc_lo, v3, s10
	v_add_co_ci_u32_e64 v6, null, s11, v4, vcc_lo
	global_store_dwordx2 v[5:6], v[10:11], off
	s_waitcnt_vscnt null, 0x0
	global_atomic_cmpswap_x2 v[3:4], v7, v[8:11], s[6:7] offset:24 glc
	s_waitcnt vmcnt(0)
	v_cmp_ne_u64_e32 vcc_lo, v[3:4], v[10:11]
	s_and_b32 exec_lo, exec_lo, vcc_lo
	s_cbranch_execz .LBB6_2340
; %bb.2338:
	s_mov_b32 s5, 0
.LBB6_2339:                             ; =>This Inner Loop Header: Depth=1
	v_mov_b32_e32 v1, s8
	v_mov_b32_e32 v2, s9
	s_sleep 1
	global_store_dwordx2 v[5:6], v[3:4], off
	s_waitcnt_vscnt null, 0x0
	global_atomic_cmpswap_x2 v[1:2], v7, v[1:4], s[6:7] offset:24 glc
	s_waitcnt vmcnt(0)
	v_cmp_eq_u64_e32 vcc_lo, v[1:2], v[3:4]
	v_mov_b32_e32 v4, v2
	v_mov_b32_e32 v3, v1
	s_or_b32 s5, vcc_lo, s5
	s_andn2_b32 exec_lo, exec_lo, s5
	s_cbranch_execnz .LBB6_2339
.LBB6_2340:
	s_or_b32 exec_lo, exec_lo, s20
	v_or_b32_e32 v0, v0, v41
	s_xor_b32 s4, s4, -1
	s_mov_b32 s23, 0
                                        ; implicit-def: $vgpr41
	v_cmp_lt_i32_e32 vcc_lo, -1, v0
	s_and_b32 s4, vcc_lo, s4
	s_and_saveexec_b32 s5, s4
	s_xor_b32 s4, exec_lo, s5
	s_cbranch_execz .LBB6_2342
; %bb.2341:
	flat_load_dword v0, v[42:43]
	v_lshl_or_b32 v29, v31, 1, 1
	s_mov_b32 s23, exec_lo
	s_waitcnt vmcnt(0) lgkmcnt(0)
	v_ashrrev_i32_e32 v1, 31, v0
	v_add_nc_u32_e32 v3, 1, v0
	v_lshl_or_b32 v41, v0, 1, 1
	v_lshlrev_b64 v[1:2], 3, v[0:1]
	v_add_co_u32 v1, vcc_lo, v42, v1
	v_add_co_ci_u32_e64 v2, null, v43, v2, vcc_lo
	flat_store_dword v[42:43], v3
	flat_store_dwordx2 v[1:2], v[29:30] offset:8
.LBB6_2342:
	s_or_saveexec_b32 s24, s4
	s_mov_b32 s4, s21
	s_xor_b32 exec_lo, exec_lo, s24
	s_cbranch_execz .LBB6_2344
; %bb.2343:
	s_getpc_b64 s[4:5]
	s_add_u32 s4, s4, .str.46@rel32@lo+4
	s_addc_u32 s5, s5, .str.46@rel32@hi+12
	s_getpc_b64 s[6:7]
	s_add_u32 s6, s6, .str.44@rel32@lo+4
	s_addc_u32 s7, s7, .str.44@rel32@hi+12
	s_getpc_b64 s[8:9]
	s_add_u32 s8, s8, __PRETTY_FUNCTION__._ZN8subgUtil18formAndNodeKeyFlagEiii@rel32@lo+4
	s_addc_u32 s9, s9, __PRETTY_FUNCTION__._ZN8subgUtil18formAndNodeKeyFlagEiii@rel32@hi+12
	v_mov_b32_e32 v0, s4
	v_mov_b32_e32 v1, s5
	;; [unrolled: 1-line block ×7, first 2 shown]
	s_getpc_b64 s[10:11]
	s_add_u32 s10, s10, __assert_fail@rel32@lo+4
	s_addc_u32 s11, s11, __assert_fail@rel32@hi+12
	s_mov_b64 s[8:9], s[52:53]
	s_swappc_b64 s[30:31], s[10:11]
	s_or_b32 s4, s21, exec_lo
.LBB6_2344:
	s_or_b32 exec_lo, exec_lo, s24
	s_andn2_b32 s5, s21, exec_lo
	s_and_b32 s4, s4, exec_lo
	s_or_b32 s21, s5, s4
	s_and_b32 s5, s23, exec_lo
.LBB6_2345:
	s_or_b32 exec_lo, exec_lo, s22
	v_readlane_b32 s24, v59, 10
	v_readlane_b32 s25, v59, 9
	;; [unrolled: 1-line block ×11, first 2 shown]
	s_andn2_b32 s4, s34, exec_lo
	s_and_b32 s6, s21, exec_lo
	s_orn2_b32 s5, s5, exec_lo
	s_or_b32 s4, s4, s6
.LBB6_2346:
	s_or_b32 exec_lo, exec_lo, s36
	s_mov_b32 s7, s28
	s_and_saveexec_b32 s6, s5
; %bb.2347:
	s_or_b32 s7, s28, exec_lo
; %bb.2348:
	s_or_b32 exec_lo, exec_lo, s6
	s_andn2_b32 s5, s34, exec_lo
	s_and_b32 s4, s4, exec_lo
	s_and_b32 s7, s7, exec_lo
	s_or_b32 s6, s5, s4
	s_andn2_b32 s5, s28, exec_lo
	s_xor_b32 s4, exec_lo, -1
	s_or_b32 s5, s5, s7
.LBB6_2349:
	s_or_b32 exec_lo, exec_lo, s37
	s_andn2_b32 s7, s34, exec_lo
	s_and_b32 s6, s6, exec_lo
	s_and_b32 s5, s5, exec_lo
	s_or_b32 s34, s7, s6
	s_andn2_b32 s6, s28, exec_lo
	s_and_b32 s4, s4, exec_lo
	s_or_b32 s5, s6, s5
.LBB6_2350:
	s_or_b32 exec_lo, exec_lo, s35
	s_andn2_b32 s6, s69, exec_lo
	s_and_b32 s7, s34, exec_lo
	s_and_b32 s5, s5, exec_lo
	s_or_b32 s69, s6, s7
	s_andn2_b32 s6, s28, exec_lo
	s_and_b32 s4, s4, exec_lo
	s_or_b32 s5, s6, s5
.LBB6_2351:
	s_or_b32 exec_lo, exec_lo, s70
	s_andn2_b32 s6, s67, exec_lo
	s_and_b32 s7, s69, exec_lo
	s_and_b32 s5, s5, exec_lo
	s_or_b32 s67, s6, s7
	s_andn2_b32 s6, s28, exec_lo
	s_and_b32 s4, s4, exec_lo
	s_or_b32 s6, s6, s5
.LBB6_2352:
	s_or_b32 exec_lo, exec_lo, s68
	s_andn2_b32 s5, s27, exec_lo
	s_and_b32 s7, s67, exec_lo
	s_andn2_b32 s8, s28, exec_lo
	s_and_b32 s6, s6, exec_lo
	s_or_b32 s7, s5, s7
	s_xor_b32 s5, exec_lo, -1
	s_and_b32 s4, s4, exec_lo
	s_or_b32 s6, s8, s6
.LBB6_2353:
	s_or_b32 exec_lo, exec_lo, s49
	s_andn2_b32 s8, s27, exec_lo
	s_and_b32 s7, s7, exec_lo
	s_and_b32 s45, s5, exec_lo
	s_andn2_b32 s5, s28, exec_lo
	s_and_b32 s6, s6, exec_lo
	s_or_b32 s27, s8, s7
	s_and_b32 s43, s4, exec_lo
	s_or_b32 s28, s5, s6
.LBB6_2354:
	s_or_b32 exec_lo, exec_lo, s44
	s_and_saveexec_b32 s4, s28
	s_or_b32 exec_lo, exec_lo, s4
	s_and_saveexec_b32 s4, s43
	s_xor_b32 s21, exec_lo, s4
	s_cbranch_execz .LBB6_2356
; %bb.2355:
	s_getpc_b64 s[4:5]
	s_add_u32 s4, s4, .str.46@rel32@lo+4
	s_addc_u32 s5, s5, .str.46@rel32@hi+12
	s_getpc_b64 s[6:7]
	s_add_u32 s6, s6, .str.44@rel32@lo+4
	s_addc_u32 s7, s7, .str.44@rel32@hi+12
	s_getpc_b64 s[8:9]
	s_add_u32 s8, s8, __PRETTY_FUNCTION__._ZN8subgUtil18formAndNodeKeyFlagEiii@rel32@lo+4
	s_addc_u32 s9, s9, __PRETTY_FUNCTION__._ZN8subgUtil18formAndNodeKeyFlagEiii@rel32@hi+12
	v_mov_b32_e32 v0, s4
	v_mov_b32_e32 v1, s5
	;; [unrolled: 1-line block ×7, first 2 shown]
	s_getpc_b64 s[10:11]
	s_add_u32 s10, s10, __assert_fail@rel32@lo+4
	s_addc_u32 s11, s11, __assert_fail@rel32@hi+12
	s_mov_b64 s[8:9], s[52:53]
	s_swappc_b64 s[30:31], s[10:11]
	s_or_b32 s27, s27, exec_lo
.LBB6_2356:
	s_or_b32 exec_lo, exec_lo, s21
	s_and_saveexec_b32 s21, s45
	s_cbranch_execz .LBB6_2492
; %bb.2357:
	s_load_dwordx2 s[6:7], s[52:53], 0x50
	v_mbcnt_lo_u32_b32 v29, -1, 0
	v_mov_b32_e32 v6, 0
	v_mov_b32_e32 v7, 0
	v_readfirstlane_b32 s4, v29
	v_cmp_eq_u32_e64 s4, s4, v29
	s_and_saveexec_b32 s5, s4
	s_cbranch_execz .LBB6_2363
; %bb.2358:
	v_mov_b32_e32 v0, 0
	s_mov_b32 s8, exec_lo
	s_waitcnt lgkmcnt(0)
	global_load_dwordx2 v[3:4], v0, s[6:7] offset:24 glc dlc
	s_waitcnt vmcnt(0)
	buffer_gl1_inv
	buffer_gl0_inv
	s_clause 0x1
	global_load_dwordx2 v[1:2], v0, s[6:7] offset:40
	global_load_dwordx2 v[5:6], v0, s[6:7]
	s_waitcnt vmcnt(1)
	v_and_b32_e32 v2, v2, v4
	v_and_b32_e32 v1, v1, v3
	v_mul_lo_u32 v2, v2, 24
	v_mul_hi_u32 v7, v1, 24
	v_mul_lo_u32 v1, v1, 24
	v_add_nc_u32_e32 v2, v7, v2
	s_waitcnt vmcnt(0)
	v_add_co_u32 v1, vcc_lo, v5, v1
	v_add_co_ci_u32_e64 v2, null, v6, v2, vcc_lo
	global_load_dwordx2 v[1:2], v[1:2], off glc dlc
	s_waitcnt vmcnt(0)
	global_atomic_cmpswap_x2 v[6:7], v0, v[1:4], s[6:7] offset:24 glc
	s_waitcnt vmcnt(0)
	buffer_gl1_inv
	buffer_gl0_inv
	v_cmpx_ne_u64_e64 v[6:7], v[3:4]
	s_cbranch_execz .LBB6_2362
; %bb.2359:
	s_mov_b32 s9, 0
.LBB6_2360:                             ; =>This Inner Loop Header: Depth=1
	s_sleep 1
	s_clause 0x1
	global_load_dwordx2 v[1:2], v0, s[6:7] offset:40
	global_load_dwordx2 v[8:9], v0, s[6:7]
	v_mov_b32_e32 v3, v6
	v_mov_b32_e32 v4, v7
	s_waitcnt vmcnt(1)
	v_and_b32_e32 v1, v1, v3
	v_and_b32_e32 v2, v2, v4
	s_waitcnt vmcnt(0)
	v_mad_u64_u32 v[5:6], null, v1, 24, v[8:9]
	v_mov_b32_e32 v1, v6
	v_mad_u64_u32 v[1:2], null, v2, 24, v[1:2]
	v_mov_b32_e32 v6, v1
	global_load_dwordx2 v[1:2], v[5:6], off glc dlc
	s_waitcnt vmcnt(0)
	global_atomic_cmpswap_x2 v[6:7], v0, v[1:4], s[6:7] offset:24 glc
	s_waitcnt vmcnt(0)
	buffer_gl1_inv
	buffer_gl0_inv
	v_cmp_eq_u64_e32 vcc_lo, v[6:7], v[3:4]
	s_or_b32 s9, vcc_lo, s9
	s_andn2_b32 exec_lo, exec_lo, s9
	s_cbranch_execnz .LBB6_2360
; %bb.2361:
	s_or_b32 exec_lo, exec_lo, s9
.LBB6_2362:
	s_or_b32 exec_lo, exec_lo, s8
.LBB6_2363:
	s_or_b32 exec_lo, exec_lo, s5
	v_mov_b32_e32 v5, 0
	v_readfirstlane_b32 s9, v7
	v_readfirstlane_b32 s8, v6
	s_mov_b32 s5, exec_lo
	s_waitcnt lgkmcnt(0)
	s_clause 0x1
	global_load_dwordx2 v[8:9], v5, s[6:7] offset:40
	global_load_dwordx4 v[0:3], v5, s[6:7]
	s_waitcnt vmcnt(1)
	v_readfirstlane_b32 s10, v8
	v_readfirstlane_b32 s11, v9
	s_and_b64 s[10:11], s[10:11], s[8:9]
	s_mul_i32 s12, s11, 24
	s_mul_hi_u32 s13, s10, 24
	s_mul_i32 s14, s10, 24
	s_add_i32 s13, s13, s12
	s_waitcnt vmcnt(0)
	v_add_co_u32 v8, vcc_lo, v0, s14
	v_add_co_ci_u32_e64 v9, null, s13, v1, vcc_lo
	s_and_saveexec_b32 s12, s4
	s_cbranch_execz .LBB6_2365
; %bb.2364:
	v_mov_b32_e32 v4, s5
	v_mov_b32_e32 v6, 2
	;; [unrolled: 1-line block ×3, first 2 shown]
	global_store_dwordx4 v[8:9], v[4:7], off offset:8
.LBB6_2365:
	s_or_b32 exec_lo, exec_lo, s12
	s_lshl_b64 s[10:11], s[10:11], 12
	v_lshlrev_b32_e32 v28, 6, v29
	v_add_co_u32 v2, vcc_lo, v2, s10
	v_add_co_ci_u32_e64 v3, null, s11, v3, vcc_lo
	s_mov_b32 s12, 0
	v_add_co_u32 v10, vcc_lo, v2, v28
	s_mov_b32 s13, s12
	s_mov_b32 s14, s12
	;; [unrolled: 1-line block ×3, first 2 shown]
	v_mov_b32_e32 v4, 33
	v_mov_b32_e32 v6, v5
	;; [unrolled: 1-line block ×3, first 2 shown]
	v_readfirstlane_b32 s10, v2
	v_readfirstlane_b32 s11, v3
	v_mov_b32_e32 v12, s12
	v_add_co_ci_u32_e64 v11, null, 0, v3, vcc_lo
	v_mov_b32_e32 v13, s13
	v_mov_b32_e32 v14, s14
	;; [unrolled: 1-line block ×3, first 2 shown]
	global_store_dwordx4 v28, v[4:7], s[10:11]
	global_store_dwordx4 v28, v[12:15], s[10:11] offset:16
	global_store_dwordx4 v28, v[12:15], s[10:11] offset:32
	global_store_dwordx4 v28, v[12:15], s[10:11] offset:48
	s_and_saveexec_b32 s5, s4
	s_cbranch_execz .LBB6_2373
; %bb.2366:
	v_mov_b32_e32 v6, 0
	v_mov_b32_e32 v12, s8
	;; [unrolled: 1-line block ×3, first 2 shown]
	s_mov_b32 s10, exec_lo
	s_clause 0x1
	global_load_dwordx2 v[14:15], v6, s[6:7] offset:32 glc dlc
	global_load_dwordx2 v[2:3], v6, s[6:7] offset:40
	s_waitcnt vmcnt(0)
	v_and_b32_e32 v3, s9, v3
	v_and_b32_e32 v2, s8, v2
	v_mul_lo_u32 v3, v3, 24
	v_mul_hi_u32 v4, v2, 24
	v_mul_lo_u32 v2, v2, 24
	v_add_nc_u32_e32 v3, v4, v3
	v_add_co_u32 v4, vcc_lo, v0, v2
	v_add_co_ci_u32_e64 v5, null, v1, v3, vcc_lo
	global_store_dwordx2 v[4:5], v[14:15], off
	s_waitcnt_vscnt null, 0x0
	global_atomic_cmpswap_x2 v[2:3], v6, v[12:15], s[6:7] offset:32 glc
	s_waitcnt vmcnt(0)
	v_cmpx_ne_u64_e64 v[2:3], v[14:15]
	s_cbranch_execz .LBB6_2369
; %bb.2367:
	s_mov_b32 s11, 0
.LBB6_2368:                             ; =>This Inner Loop Header: Depth=1
	v_mov_b32_e32 v0, s8
	v_mov_b32_e32 v1, s9
	s_sleep 1
	global_store_dwordx2 v[4:5], v[2:3], off
	s_waitcnt_vscnt null, 0x0
	global_atomic_cmpswap_x2 v[0:1], v6, v[0:3], s[6:7] offset:32 glc
	s_waitcnt vmcnt(0)
	v_cmp_eq_u64_e32 vcc_lo, v[0:1], v[2:3]
	v_mov_b32_e32 v3, v1
	v_mov_b32_e32 v2, v0
	s_or_b32 s11, vcc_lo, s11
	s_andn2_b32 exec_lo, exec_lo, s11
	s_cbranch_execnz .LBB6_2368
.LBB6_2369:
	s_or_b32 exec_lo, exec_lo, s10
	v_mov_b32_e32 v3, 0
	s_mov_b32 s11, exec_lo
	s_mov_b32 s10, exec_lo
	v_mbcnt_lo_u32_b32 v2, s11, 0
	global_load_dwordx2 v[0:1], v3, s[6:7] offset:16
	v_cmpx_eq_u32_e32 0, v2
	s_cbranch_execz .LBB6_2371
; %bb.2370:
	s_bcnt1_i32_b32 s11, s11
	v_mov_b32_e32 v2, s11
	s_waitcnt vmcnt(0)
	global_atomic_add_x2 v[0:1], v[2:3], off offset:8
.LBB6_2371:
	s_or_b32 exec_lo, exec_lo, s10
	s_waitcnt vmcnt(0)
	global_load_dwordx2 v[2:3], v[0:1], off offset:16
	s_waitcnt vmcnt(0)
	v_cmp_eq_u64_e32 vcc_lo, 0, v[2:3]
	s_cbranch_vccnz .LBB6_2373
; %bb.2372:
	global_load_dword v0, v[0:1], off offset:24
	v_mov_b32_e32 v1, 0
	s_waitcnt vmcnt(0)
	v_readfirstlane_b32 s10, v0
	s_waitcnt_vscnt null, 0x0
	global_store_dwordx2 v[2:3], v[0:1], off
	s_and_b32 m0, s10, 0x7fffff
	s_sendmsg sendmsg(MSG_INTERRUPT)
.LBB6_2373:
	s_or_b32 exec_lo, exec_lo, s5
	s_branch .LBB6_2377
	.p2align	6
.LBB6_2374:                             ;   in Loop: Header=BB6_2377 Depth=1
	s_or_b32 exec_lo, exec_lo, s5
	v_readfirstlane_b32 s5, v0
	s_cmp_eq_u32 s5, 0
	s_cbranch_scc1 .LBB6_2376
; %bb.2375:                             ;   in Loop: Header=BB6_2377 Depth=1
	s_sleep 1
	s_cbranch_execnz .LBB6_2377
	s_branch .LBB6_2379
.LBB6_2376:
	s_branch .LBB6_2379
.LBB6_2377:                             ; =>This Inner Loop Header: Depth=1
	v_mov_b32_e32 v0, 1
	s_and_saveexec_b32 s5, s4
	s_cbranch_execz .LBB6_2374
; %bb.2378:                             ;   in Loop: Header=BB6_2377 Depth=1
	global_load_dword v0, v[8:9], off offset:20 glc dlc
	s_waitcnt vmcnt(0)
	buffer_gl1_inv
	buffer_gl0_inv
	v_and_b32_e32 v0, 1, v0
	s_branch .LBB6_2374
.LBB6_2379:
	global_load_dwordx2 v[0:1], v[10:11], off
	s_and_saveexec_b32 s10, s4
	s_cbranch_execz .LBB6_2383
; %bb.2380:
	v_mov_b32_e32 v8, 0
	s_clause 0x2
	global_load_dwordx2 v[2:3], v8, s[6:7] offset:40
	global_load_dwordx2 v[11:12], v8, s[6:7] offset:24 glc dlc
	global_load_dwordx2 v[4:5], v8, s[6:7]
	s_waitcnt vmcnt(2)
	v_readfirstlane_b32 s12, v2
	v_readfirstlane_b32 s13, v3
	s_add_u32 s11, s12, 1
	s_addc_u32 s14, s13, 0
	s_add_u32 s4, s11, s8
	s_addc_u32 s5, s14, s9
	s_cmp_eq_u64 s[4:5], 0
	s_cselect_b32 s5, s14, s5
	s_cselect_b32 s4, s11, s4
	v_mov_b32_e32 v10, s5
	s_and_b64 s[8:9], s[4:5], s[12:13]
	v_mov_b32_e32 v9, s4
	s_mul_i32 s9, s9, 24
	s_mul_hi_u32 s11, s8, 24
	s_mul_i32 s8, s8, 24
	s_add_i32 s11, s11, s9
	s_waitcnt vmcnt(0)
	v_add_co_u32 v6, vcc_lo, v4, s8
	v_add_co_ci_u32_e64 v7, null, s11, v5, vcc_lo
	global_store_dwordx2 v[6:7], v[11:12], off
	s_waitcnt_vscnt null, 0x0
	global_atomic_cmpswap_x2 v[4:5], v8, v[9:12], s[6:7] offset:24 glc
	s_waitcnt vmcnt(0)
	v_cmp_ne_u64_e32 vcc_lo, v[4:5], v[11:12]
	s_and_b32 exec_lo, exec_lo, vcc_lo
	s_cbranch_execz .LBB6_2383
; %bb.2381:
	s_mov_b32 s8, 0
.LBB6_2382:                             ; =>This Inner Loop Header: Depth=1
	v_mov_b32_e32 v2, s4
	v_mov_b32_e32 v3, s5
	s_sleep 1
	global_store_dwordx2 v[6:7], v[4:5], off
	s_waitcnt_vscnt null, 0x0
	global_atomic_cmpswap_x2 v[2:3], v8, v[2:5], s[6:7] offset:24 glc
	s_waitcnt vmcnt(0)
	v_cmp_eq_u64_e32 vcc_lo, v[2:3], v[4:5]
	v_mov_b32_e32 v5, v3
	v_mov_b32_e32 v4, v2
	s_or_b32 s8, vcc_lo, s8
	s_andn2_b32 exec_lo, exec_lo, s8
	s_cbranch_execnz .LBB6_2382
.LBB6_2383:
	s_or_b32 exec_lo, exec_lo, s10
	s_getpc_b64 s[8:9]
	s_add_u32 s8, s8, .str.28@rel32@lo+4
	s_addc_u32 s9, s9, .str.28@rel32@hi+12
	s_cmp_lg_u64 s[8:9], 0
	s_cbranch_scc0 .LBB6_2462
; %bb.2384:
	s_waitcnt vmcnt(0)
	v_and_b32_e32 v6, -3, v0
	v_mov_b32_e32 v7, v1
	v_mov_b32_e32 v3, 0
	;; [unrolled: 1-line block ×4, first 2 shown]
	s_mov_b64 s[10:11], 35
	s_branch .LBB6_2386
.LBB6_2385:                             ;   in Loop: Header=BB6_2386 Depth=1
	s_or_b32 exec_lo, exec_lo, s16
	s_sub_u32 s10, s10, s12
	s_subb_u32 s11, s11, s13
	s_add_u32 s8, s8, s12
	s_addc_u32 s9, s9, s13
	s_cmp_lg_u64 s[10:11], 0
	s_cbranch_scc0 .LBB6_2461
.LBB6_2386:                             ; =>This Loop Header: Depth=1
                                        ;     Child Loop BB6_2389 Depth 2
                                        ;     Child Loop BB6_2396 Depth 2
	;; [unrolled: 1-line block ×11, first 2 shown]
	v_cmp_lt_u64_e64 s4, s[10:11], 56
	v_cmp_gt_u64_e64 s14, s[10:11], 7
	s_and_b32 s4, s4, exec_lo
	s_cselect_b32 s13, s11, 0
	s_cselect_b32 s12, s10, 56
	s_add_u32 s4, s8, 8
	s_addc_u32 s5, s9, 0
	s_and_b32 vcc_lo, exec_lo, s14
	s_cbranch_vccnz .LBB6_2391
; %bb.2387:                             ;   in Loop: Header=BB6_2386 Depth=1
	s_waitcnt vmcnt(0)
	v_mov_b32_e32 v8, 0
	v_mov_b32_e32 v9, 0
	s_cmp_eq_u64 s[10:11], 0
	s_cbranch_scc1 .LBB6_2390
; %bb.2388:                             ;   in Loop: Header=BB6_2386 Depth=1
	s_lshl_b64 s[4:5], s[12:13], 3
	s_mov_b64 s[14:15], 0
	s_mov_b64 s[16:17], s[8:9]
.LBB6_2389:                             ;   Parent Loop BB6_2386 Depth=1
                                        ; =>  This Inner Loop Header: Depth=2
	global_load_ubyte v2, v3, s[16:17]
	s_waitcnt vmcnt(0)
	v_and_b32_e32 v2, 0xffff, v2
	v_lshlrev_b64 v[10:11], s14, v[2:3]
	s_add_u32 s14, s14, 8
	s_addc_u32 s15, s15, 0
	s_add_u32 s16, s16, 1
	s_addc_u32 s17, s17, 0
	s_cmp_lg_u32 s4, s14
	v_or_b32_e32 v8, v10, v8
	v_or_b32_e32 v9, v11, v9
	s_cbranch_scc1 .LBB6_2389
.LBB6_2390:                             ;   in Loop: Header=BB6_2386 Depth=1
	s_mov_b64 s[4:5], s[8:9]
	s_mov_b32 s18, 0
	s_cbranch_execz .LBB6_2392
	s_branch .LBB6_2393
.LBB6_2391:                             ;   in Loop: Header=BB6_2386 Depth=1
	s_mov_b32 s18, 0
.LBB6_2392:                             ;   in Loop: Header=BB6_2386 Depth=1
	global_load_dwordx2 v[8:9], v3, s[8:9]
	s_add_i32 s18, s12, -8
.LBB6_2393:                             ;   in Loop: Header=BB6_2386 Depth=1
	s_add_u32 s14, s4, 8
	s_addc_u32 s15, s5, 0
	s_cmp_gt_u32 s18, 7
	s_cbranch_scc1 .LBB6_2398
; %bb.2394:                             ;   in Loop: Header=BB6_2386 Depth=1
	v_mov_b32_e32 v10, 0
	v_mov_b32_e32 v11, 0
	s_cmp_eq_u32 s18, 0
	s_cbranch_scc1 .LBB6_2397
; %bb.2395:                             ;   in Loop: Header=BB6_2386 Depth=1
	s_mov_b64 s[14:15], 0
	s_mov_b64 s[16:17], 0
.LBB6_2396:                             ;   Parent Loop BB6_2386 Depth=1
                                        ; =>  This Inner Loop Header: Depth=2
	s_add_u32 s42, s4, s16
	s_addc_u32 s43, s5, s17
	s_add_u32 s16, s16, 1
	global_load_ubyte v2, v3, s[42:43]
	s_addc_u32 s17, s17, 0
	s_waitcnt vmcnt(0)
	v_and_b32_e32 v2, 0xffff, v2
	v_lshlrev_b64 v[12:13], s14, v[2:3]
	s_add_u32 s14, s14, 8
	s_addc_u32 s15, s15, 0
	s_cmp_lg_u32 s18, s16
	v_or_b32_e32 v10, v12, v10
	v_or_b32_e32 v11, v13, v11
	s_cbranch_scc1 .LBB6_2396
.LBB6_2397:                             ;   in Loop: Header=BB6_2386 Depth=1
	s_mov_b64 s[14:15], s[4:5]
	s_mov_b32 s19, 0
	s_cbranch_execz .LBB6_2399
	s_branch .LBB6_2400
.LBB6_2398:                             ;   in Loop: Header=BB6_2386 Depth=1
                                        ; implicit-def: $vgpr10_vgpr11
	s_mov_b32 s19, 0
.LBB6_2399:                             ;   in Loop: Header=BB6_2386 Depth=1
	global_load_dwordx2 v[10:11], v3, s[4:5]
	s_add_i32 s19, s18, -8
.LBB6_2400:                             ;   in Loop: Header=BB6_2386 Depth=1
	s_add_u32 s4, s14, 8
	s_addc_u32 s5, s15, 0
	s_cmp_gt_u32 s19, 7
	s_cbranch_scc1 .LBB6_2405
; %bb.2401:                             ;   in Loop: Header=BB6_2386 Depth=1
	v_mov_b32_e32 v12, 0
	v_mov_b32_e32 v13, 0
	s_cmp_eq_u32 s19, 0
	s_cbranch_scc1 .LBB6_2404
; %bb.2402:                             ;   in Loop: Header=BB6_2386 Depth=1
	s_mov_b64 s[4:5], 0
	s_mov_b64 s[16:17], 0
.LBB6_2403:                             ;   Parent Loop BB6_2386 Depth=1
                                        ; =>  This Inner Loop Header: Depth=2
	s_add_u32 s42, s14, s16
	s_addc_u32 s43, s15, s17
	s_add_u32 s16, s16, 1
	global_load_ubyte v2, v3, s[42:43]
	s_addc_u32 s17, s17, 0
	s_waitcnt vmcnt(0)
	v_and_b32_e32 v2, 0xffff, v2
	v_lshlrev_b64 v[14:15], s4, v[2:3]
	s_add_u32 s4, s4, 8
	s_addc_u32 s5, s5, 0
	s_cmp_lg_u32 s19, s16
	v_or_b32_e32 v12, v14, v12
	v_or_b32_e32 v13, v15, v13
	s_cbranch_scc1 .LBB6_2403
.LBB6_2404:                             ;   in Loop: Header=BB6_2386 Depth=1
	s_mov_b64 s[4:5], s[14:15]
	s_mov_b32 s18, 0
	s_cbranch_execz .LBB6_2406
	s_branch .LBB6_2407
.LBB6_2405:                             ;   in Loop: Header=BB6_2386 Depth=1
	s_mov_b32 s18, 0
.LBB6_2406:                             ;   in Loop: Header=BB6_2386 Depth=1
	global_load_dwordx2 v[12:13], v3, s[14:15]
	s_add_i32 s18, s19, -8
.LBB6_2407:                             ;   in Loop: Header=BB6_2386 Depth=1
	s_add_u32 s14, s4, 8
	s_addc_u32 s15, s5, 0
	s_cmp_gt_u32 s18, 7
	s_cbranch_scc1 .LBB6_2412
; %bb.2408:                             ;   in Loop: Header=BB6_2386 Depth=1
	v_mov_b32_e32 v14, 0
	v_mov_b32_e32 v15, 0
	s_cmp_eq_u32 s18, 0
	s_cbranch_scc1 .LBB6_2411
; %bb.2409:                             ;   in Loop: Header=BB6_2386 Depth=1
	s_mov_b64 s[14:15], 0
	s_mov_b64 s[16:17], 0
.LBB6_2410:                             ;   Parent Loop BB6_2386 Depth=1
                                        ; =>  This Inner Loop Header: Depth=2
	s_add_u32 s42, s4, s16
	s_addc_u32 s43, s5, s17
	s_add_u32 s16, s16, 1
	global_load_ubyte v2, v3, s[42:43]
	s_addc_u32 s17, s17, 0
	s_waitcnt vmcnt(0)
	v_and_b32_e32 v2, 0xffff, v2
	v_lshlrev_b64 v[16:17], s14, v[2:3]
	s_add_u32 s14, s14, 8
	s_addc_u32 s15, s15, 0
	s_cmp_lg_u32 s18, s16
	v_or_b32_e32 v14, v16, v14
	v_or_b32_e32 v15, v17, v15
	s_cbranch_scc1 .LBB6_2410
.LBB6_2411:                             ;   in Loop: Header=BB6_2386 Depth=1
	s_mov_b64 s[14:15], s[4:5]
	s_mov_b32 s19, 0
	s_cbranch_execz .LBB6_2413
	s_branch .LBB6_2414
.LBB6_2412:                             ;   in Loop: Header=BB6_2386 Depth=1
                                        ; implicit-def: $vgpr14_vgpr15
	s_mov_b32 s19, 0
.LBB6_2413:                             ;   in Loop: Header=BB6_2386 Depth=1
	global_load_dwordx2 v[14:15], v3, s[4:5]
	s_add_i32 s19, s18, -8
.LBB6_2414:                             ;   in Loop: Header=BB6_2386 Depth=1
	s_add_u32 s4, s14, 8
	s_addc_u32 s5, s15, 0
	s_cmp_gt_u32 s19, 7
	s_cbranch_scc1 .LBB6_2419
; %bb.2415:                             ;   in Loop: Header=BB6_2386 Depth=1
	v_mov_b32_e32 v16, 0
	v_mov_b32_e32 v17, 0
	s_cmp_eq_u32 s19, 0
	s_cbranch_scc1 .LBB6_2418
; %bb.2416:                             ;   in Loop: Header=BB6_2386 Depth=1
	s_mov_b64 s[4:5], 0
	s_mov_b64 s[16:17], 0
.LBB6_2417:                             ;   Parent Loop BB6_2386 Depth=1
                                        ; =>  This Inner Loop Header: Depth=2
	s_add_u32 s42, s14, s16
	s_addc_u32 s43, s15, s17
	s_add_u32 s16, s16, 1
	global_load_ubyte v2, v3, s[42:43]
	s_addc_u32 s17, s17, 0
	s_waitcnt vmcnt(0)
	v_and_b32_e32 v2, 0xffff, v2
	v_lshlrev_b64 v[18:19], s4, v[2:3]
	s_add_u32 s4, s4, 8
	s_addc_u32 s5, s5, 0
	s_cmp_lg_u32 s19, s16
	v_or_b32_e32 v16, v18, v16
	v_or_b32_e32 v17, v19, v17
	s_cbranch_scc1 .LBB6_2417
.LBB6_2418:                             ;   in Loop: Header=BB6_2386 Depth=1
	s_mov_b64 s[4:5], s[14:15]
	s_mov_b32 s18, 0
	s_cbranch_execz .LBB6_2420
	s_branch .LBB6_2421
.LBB6_2419:                             ;   in Loop: Header=BB6_2386 Depth=1
	s_mov_b32 s18, 0
.LBB6_2420:                             ;   in Loop: Header=BB6_2386 Depth=1
	global_load_dwordx2 v[16:17], v3, s[14:15]
	s_add_i32 s18, s19, -8
.LBB6_2421:                             ;   in Loop: Header=BB6_2386 Depth=1
	s_add_u32 s14, s4, 8
	s_addc_u32 s15, s5, 0
	s_cmp_gt_u32 s18, 7
	s_cbranch_scc1 .LBB6_2426
; %bb.2422:                             ;   in Loop: Header=BB6_2386 Depth=1
	v_mov_b32_e32 v18, 0
	v_mov_b32_e32 v19, 0
	s_cmp_eq_u32 s18, 0
	s_cbranch_scc1 .LBB6_2425
; %bb.2423:                             ;   in Loop: Header=BB6_2386 Depth=1
	s_mov_b64 s[14:15], 0
	s_mov_b64 s[16:17], 0
.LBB6_2424:                             ;   Parent Loop BB6_2386 Depth=1
                                        ; =>  This Inner Loop Header: Depth=2
	s_add_u32 s42, s4, s16
	s_addc_u32 s43, s5, s17
	s_add_u32 s16, s16, 1
	global_load_ubyte v2, v3, s[42:43]
	s_addc_u32 s17, s17, 0
	s_waitcnt vmcnt(0)
	v_and_b32_e32 v2, 0xffff, v2
	v_lshlrev_b64 v[20:21], s14, v[2:3]
	s_add_u32 s14, s14, 8
	s_addc_u32 s15, s15, 0
	s_cmp_lg_u32 s18, s16
	v_or_b32_e32 v18, v20, v18
	v_or_b32_e32 v19, v21, v19
	s_cbranch_scc1 .LBB6_2424
.LBB6_2425:                             ;   in Loop: Header=BB6_2386 Depth=1
	s_mov_b64 s[14:15], s[4:5]
	s_mov_b32 s19, 0
	s_cbranch_execz .LBB6_2427
	s_branch .LBB6_2428
.LBB6_2426:                             ;   in Loop: Header=BB6_2386 Depth=1
                                        ; implicit-def: $vgpr18_vgpr19
	s_mov_b32 s19, 0
.LBB6_2427:                             ;   in Loop: Header=BB6_2386 Depth=1
	global_load_dwordx2 v[18:19], v3, s[4:5]
	s_add_i32 s19, s18, -8
.LBB6_2428:                             ;   in Loop: Header=BB6_2386 Depth=1
	s_cmp_gt_u32 s19, 7
	s_cbranch_scc1 .LBB6_2433
; %bb.2429:                             ;   in Loop: Header=BB6_2386 Depth=1
	v_mov_b32_e32 v20, 0
	v_mov_b32_e32 v21, 0
	s_cmp_eq_u32 s19, 0
	s_cbranch_scc1 .LBB6_2432
; %bb.2430:                             ;   in Loop: Header=BB6_2386 Depth=1
	s_mov_b64 s[4:5], 0
	s_mov_b64 s[16:17], s[14:15]
.LBB6_2431:                             ;   Parent Loop BB6_2386 Depth=1
                                        ; =>  This Inner Loop Header: Depth=2
	global_load_ubyte v2, v3, s[16:17]
	s_add_i32 s19, s19, -1
	s_waitcnt vmcnt(0)
	v_and_b32_e32 v2, 0xffff, v2
	v_lshlrev_b64 v[22:23], s4, v[2:3]
	s_add_u32 s4, s4, 8
	s_addc_u32 s5, s5, 0
	s_add_u32 s16, s16, 1
	s_addc_u32 s17, s17, 0
	s_cmp_lg_u32 s19, 0
	v_or_b32_e32 v20, v22, v20
	v_or_b32_e32 v21, v23, v21
	s_cbranch_scc1 .LBB6_2431
.LBB6_2432:                             ;   in Loop: Header=BB6_2386 Depth=1
	s_cbranch_execz .LBB6_2434
	s_branch .LBB6_2435
.LBB6_2433:                             ;   in Loop: Header=BB6_2386 Depth=1
.LBB6_2434:                             ;   in Loop: Header=BB6_2386 Depth=1
	global_load_dwordx2 v[20:21], v3, s[14:15]
.LBB6_2435:                             ;   in Loop: Header=BB6_2386 Depth=1
	v_readfirstlane_b32 s4, v29
	v_mov_b32_e32 v26, 0
	v_mov_b32_e32 v27, 0
	v_cmp_eq_u32_e64 s4, s4, v29
	s_and_saveexec_b32 s5, s4
	s_cbranch_execz .LBB6_2441
; %bb.2436:                             ;   in Loop: Header=BB6_2386 Depth=1
	global_load_dwordx2 v[24:25], v3, s[6:7] offset:24 glc dlc
	s_waitcnt vmcnt(0)
	buffer_gl1_inv
	buffer_gl0_inv
	s_clause 0x1
	global_load_dwordx2 v[22:23], v3, s[6:7] offset:40
	global_load_dwordx2 v[26:27], v3, s[6:7]
	s_mov_b32 s14, exec_lo
	s_waitcnt vmcnt(1)
	v_and_b32_e32 v2, v23, v25
	v_and_b32_e32 v22, v22, v24
	v_mul_lo_u32 v2, v2, 24
	v_mul_hi_u32 v23, v22, 24
	v_mul_lo_u32 v22, v22, 24
	v_add_nc_u32_e32 v2, v23, v2
	s_waitcnt vmcnt(0)
	v_add_co_u32 v22, vcc_lo, v26, v22
	v_add_co_ci_u32_e64 v23, null, v27, v2, vcc_lo
	global_load_dwordx2 v[22:23], v[22:23], off glc dlc
	s_waitcnt vmcnt(0)
	global_atomic_cmpswap_x2 v[26:27], v3, v[22:25], s[6:7] offset:24 glc
	s_waitcnt vmcnt(0)
	buffer_gl1_inv
	buffer_gl0_inv
	v_cmpx_ne_u64_e64 v[26:27], v[24:25]
	s_cbranch_execz .LBB6_2440
; %bb.2437:                             ;   in Loop: Header=BB6_2386 Depth=1
	s_mov_b32 s15, 0
	.p2align	6
.LBB6_2438:                             ;   Parent Loop BB6_2386 Depth=1
                                        ; =>  This Inner Loop Header: Depth=2
	s_sleep 1
	s_clause 0x1
	global_load_dwordx2 v[22:23], v3, s[6:7] offset:40
	global_load_dwordx2 v[30:31], v3, s[6:7]
	v_mov_b32_e32 v24, v26
	v_mov_b32_e32 v25, v27
	s_waitcnt vmcnt(1)
	v_and_b32_e32 v2, v22, v24
	v_and_b32_e32 v22, v23, v25
	s_waitcnt vmcnt(0)
	v_mad_u64_u32 v[26:27], null, v2, 24, v[30:31]
	v_mov_b32_e32 v2, v27
	v_mad_u64_u32 v[22:23], null, v22, 24, v[2:3]
	v_mov_b32_e32 v27, v22
	global_load_dwordx2 v[22:23], v[26:27], off glc dlc
	s_waitcnt vmcnt(0)
	global_atomic_cmpswap_x2 v[26:27], v3, v[22:25], s[6:7] offset:24 glc
	s_waitcnt vmcnt(0)
	buffer_gl1_inv
	buffer_gl0_inv
	v_cmp_eq_u64_e32 vcc_lo, v[26:27], v[24:25]
	s_or_b32 s15, vcc_lo, s15
	s_andn2_b32 exec_lo, exec_lo, s15
	s_cbranch_execnz .LBB6_2438
; %bb.2439:                             ;   in Loop: Header=BB6_2386 Depth=1
	s_or_b32 exec_lo, exec_lo, s15
.LBB6_2440:                             ;   in Loop: Header=BB6_2386 Depth=1
	s_or_b32 exec_lo, exec_lo, s14
.LBB6_2441:                             ;   in Loop: Header=BB6_2386 Depth=1
	s_or_b32 exec_lo, exec_lo, s5
	s_clause 0x1
	global_load_dwordx2 v[30:31], v3, s[6:7] offset:40
	global_load_dwordx4 v[22:25], v3, s[6:7]
	v_readfirstlane_b32 s15, v27
	v_readfirstlane_b32 s14, v26
	s_mov_b32 s5, exec_lo
	s_waitcnt vmcnt(1)
	v_readfirstlane_b32 s16, v30
	v_readfirstlane_b32 s17, v31
	s_and_b64 s[16:17], s[16:17], s[14:15]
	s_mul_i32 s18, s17, 24
	s_mul_hi_u32 s19, s16, 24
	s_mul_i32 s20, s16, 24
	s_add_i32 s19, s19, s18
	s_waitcnt vmcnt(0)
	v_add_co_u32 v26, vcc_lo, v22, s20
	v_add_co_ci_u32_e64 v27, null, s19, v23, vcc_lo
	s_and_saveexec_b32 s18, s4
	s_cbranch_execz .LBB6_2443
; %bb.2442:                             ;   in Loop: Header=BB6_2386 Depth=1
	v_mov_b32_e32 v2, s5
	global_store_dwordx4 v[26:27], v[2:5], off offset:8
.LBB6_2443:                             ;   in Loop: Header=BB6_2386 Depth=1
	s_or_b32 exec_lo, exec_lo, s18
	v_cmp_gt_u64_e64 s5, s[10:11], 56
	s_lshl_b64 s[16:17], s[16:17], 12
	v_and_b32_e32 v2, 0xffffff1f, v6
	v_add_co_u32 v24, vcc_lo, v24, s16
	v_add_co_ci_u32_e64 v25, null, s17, v25, vcc_lo
	s_and_b32 s5, s5, exec_lo
	s_cselect_b32 s5, 0, 2
	s_lshl_b32 s18, s12, 2
	v_or_b32_e32 v2, s5, v2
	v_readfirstlane_b32 s16, v24
	v_readfirstlane_b32 s17, v25
	s_add_i32 s18, s18, 28
	v_and_or_b32 v6, 0x1e0, s18, v2
	global_store_dwordx4 v28, v[10:13], s[16:17] offset:16
	global_store_dwordx4 v28, v[14:17], s[16:17] offset:32
	global_store_dwordx4 v28, v[6:9], s[16:17]
	global_store_dwordx4 v28, v[18:21], s[16:17] offset:48
	s_and_saveexec_b32 s5, s4
	s_cbranch_execz .LBB6_2451
; %bb.2444:                             ;   in Loop: Header=BB6_2386 Depth=1
	s_clause 0x1
	global_load_dwordx2 v[14:15], v3, s[6:7] offset:32 glc dlc
	global_load_dwordx2 v[6:7], v3, s[6:7] offset:40
	v_mov_b32_e32 v12, s14
	v_mov_b32_e32 v13, s15
	s_waitcnt vmcnt(0)
	v_readfirstlane_b32 s16, v6
	v_readfirstlane_b32 s17, v7
	s_and_b64 s[16:17], s[16:17], s[14:15]
	s_mul_i32 s17, s17, 24
	s_mul_hi_u32 s18, s16, 24
	s_mul_i32 s16, s16, 24
	s_add_i32 s18, s18, s17
	v_add_co_u32 v10, vcc_lo, v22, s16
	v_add_co_ci_u32_e64 v11, null, s18, v23, vcc_lo
	s_mov_b32 s16, exec_lo
	global_store_dwordx2 v[10:11], v[14:15], off
	s_waitcnt_vscnt null, 0x0
	global_atomic_cmpswap_x2 v[8:9], v3, v[12:15], s[6:7] offset:32 glc
	s_waitcnt vmcnt(0)
	v_cmpx_ne_u64_e64 v[8:9], v[14:15]
	s_cbranch_execz .LBB6_2447
; %bb.2445:                             ;   in Loop: Header=BB6_2386 Depth=1
	s_mov_b32 s17, 0
.LBB6_2446:                             ;   Parent Loop BB6_2386 Depth=1
                                        ; =>  This Inner Loop Header: Depth=2
	v_mov_b32_e32 v6, s14
	v_mov_b32_e32 v7, s15
	s_sleep 1
	global_store_dwordx2 v[10:11], v[8:9], off
	s_waitcnt_vscnt null, 0x0
	global_atomic_cmpswap_x2 v[6:7], v3, v[6:9], s[6:7] offset:32 glc
	s_waitcnt vmcnt(0)
	v_cmp_eq_u64_e32 vcc_lo, v[6:7], v[8:9]
	v_mov_b32_e32 v9, v7
	v_mov_b32_e32 v8, v6
	s_or_b32 s17, vcc_lo, s17
	s_andn2_b32 exec_lo, exec_lo, s17
	s_cbranch_execnz .LBB6_2446
.LBB6_2447:                             ;   in Loop: Header=BB6_2386 Depth=1
	s_or_b32 exec_lo, exec_lo, s16
	global_load_dwordx2 v[6:7], v3, s[6:7] offset:16
	s_mov_b32 s17, exec_lo
	s_mov_b32 s16, exec_lo
	v_mbcnt_lo_u32_b32 v2, s17, 0
	v_cmpx_eq_u32_e32 0, v2
	s_cbranch_execz .LBB6_2449
; %bb.2448:                             ;   in Loop: Header=BB6_2386 Depth=1
	s_bcnt1_i32_b32 s17, s17
	v_mov_b32_e32 v2, s17
	s_waitcnt vmcnt(0)
	global_atomic_add_x2 v[6:7], v[2:3], off offset:8
.LBB6_2449:                             ;   in Loop: Header=BB6_2386 Depth=1
	s_or_b32 exec_lo, exec_lo, s16
	s_waitcnt vmcnt(0)
	global_load_dwordx2 v[8:9], v[6:7], off offset:16
	s_waitcnt vmcnt(0)
	v_cmp_eq_u64_e32 vcc_lo, 0, v[8:9]
	s_cbranch_vccnz .LBB6_2451
; %bb.2450:                             ;   in Loop: Header=BB6_2386 Depth=1
	global_load_dword v2, v[6:7], off offset:24
	s_waitcnt vmcnt(0)
	v_readfirstlane_b32 s16, v2
	s_waitcnt_vscnt null, 0x0
	global_store_dwordx2 v[8:9], v[2:3], off
	s_and_b32 m0, s16, 0x7fffff
	s_sendmsg sendmsg(MSG_INTERRUPT)
.LBB6_2451:                             ;   in Loop: Header=BB6_2386 Depth=1
	s_or_b32 exec_lo, exec_lo, s5
	v_add_co_u32 v6, vcc_lo, v24, v28
	v_add_co_ci_u32_e64 v7, null, 0, v25, vcc_lo
	s_branch .LBB6_2455
	.p2align	6
.LBB6_2452:                             ;   in Loop: Header=BB6_2455 Depth=2
	s_or_b32 exec_lo, exec_lo, s5
	v_readfirstlane_b32 s5, v2
	s_cmp_eq_u32 s5, 0
	s_cbranch_scc1 .LBB6_2454
; %bb.2453:                             ;   in Loop: Header=BB6_2455 Depth=2
	s_sleep 1
	s_cbranch_execnz .LBB6_2455
	s_branch .LBB6_2457
	.p2align	6
.LBB6_2454:                             ;   in Loop: Header=BB6_2386 Depth=1
	s_branch .LBB6_2457
.LBB6_2455:                             ;   Parent Loop BB6_2386 Depth=1
                                        ; =>  This Inner Loop Header: Depth=2
	v_mov_b32_e32 v2, 1
	s_and_saveexec_b32 s5, s4
	s_cbranch_execz .LBB6_2452
; %bb.2456:                             ;   in Loop: Header=BB6_2455 Depth=2
	global_load_dword v2, v[26:27], off offset:20 glc dlc
	s_waitcnt vmcnt(0)
	buffer_gl1_inv
	buffer_gl0_inv
	v_and_b32_e32 v2, 1, v2
	s_branch .LBB6_2452
.LBB6_2457:                             ;   in Loop: Header=BB6_2386 Depth=1
	global_load_dwordx4 v[6:9], v[6:7], off
	s_and_saveexec_b32 s16, s4
	s_cbranch_execz .LBB6_2385
; %bb.2458:                             ;   in Loop: Header=BB6_2386 Depth=1
	s_clause 0x2
	global_load_dwordx2 v[8:9], v3, s[6:7] offset:40
	global_load_dwordx2 v[16:17], v3, s[6:7] offset:24 glc dlc
	global_load_dwordx2 v[10:11], v3, s[6:7]
	s_waitcnt vmcnt(2)
	v_readfirstlane_b32 s18, v8
	v_readfirstlane_b32 s19, v9
	s_add_u32 s17, s18, 1
	s_addc_u32 s20, s19, 0
	s_add_u32 s4, s17, s14
	s_addc_u32 s5, s20, s15
	s_cmp_eq_u64 s[4:5], 0
	s_cselect_b32 s5, s20, s5
	s_cselect_b32 s4, s17, s4
	v_mov_b32_e32 v15, s5
	s_and_b64 s[14:15], s[4:5], s[18:19]
	v_mov_b32_e32 v14, s4
	s_mul_i32 s15, s15, 24
	s_mul_hi_u32 s17, s14, 24
	s_mul_i32 s14, s14, 24
	s_add_i32 s17, s17, s15
	s_waitcnt vmcnt(0)
	v_add_co_u32 v12, vcc_lo, v10, s14
	v_add_co_ci_u32_e64 v13, null, s17, v11, vcc_lo
	global_store_dwordx2 v[12:13], v[16:17], off
	s_waitcnt_vscnt null, 0x0
	global_atomic_cmpswap_x2 v[10:11], v3, v[14:17], s[6:7] offset:24 glc
	s_waitcnt vmcnt(0)
	v_cmp_ne_u64_e32 vcc_lo, v[10:11], v[16:17]
	s_and_b32 exec_lo, exec_lo, vcc_lo
	s_cbranch_execz .LBB6_2385
; %bb.2459:                             ;   in Loop: Header=BB6_2386 Depth=1
	s_mov_b32 s14, 0
.LBB6_2460:                             ;   Parent Loop BB6_2386 Depth=1
                                        ; =>  This Inner Loop Header: Depth=2
	v_mov_b32_e32 v8, s4
	v_mov_b32_e32 v9, s5
	s_sleep 1
	global_store_dwordx2 v[12:13], v[10:11], off
	s_waitcnt_vscnt null, 0x0
	global_atomic_cmpswap_x2 v[8:9], v3, v[8:11], s[6:7] offset:24 glc
	s_waitcnt vmcnt(0)
	v_cmp_eq_u64_e32 vcc_lo, v[8:9], v[10:11]
	v_mov_b32_e32 v11, v9
	v_mov_b32_e32 v10, v8
	s_or_b32 s14, vcc_lo, s14
	s_andn2_b32 exec_lo, exec_lo, s14
	s_cbranch_execnz .LBB6_2460
	s_branch .LBB6_2385
.LBB6_2461:
	s_mov_b32 s4, 0
	s_branch .LBB6_2463
.LBB6_2462:
	s_mov_b32 s4, -1
.LBB6_2463:
	s_and_b32 vcc_lo, exec_lo, s4
	s_cbranch_vccz .LBB6_2491
; %bb.2464:
	v_readfirstlane_b32 s4, v29
	s_waitcnt vmcnt(0)
	v_mov_b32_e32 v8, 0
	v_mov_b32_e32 v9, 0
	v_cmp_eq_u32_e64 s4, s4, v29
	s_and_saveexec_b32 s5, s4
	s_cbranch_execz .LBB6_2470
; %bb.2465:
	v_mov_b32_e32 v2, 0
	s_mov_b32 s8, exec_lo
	global_load_dwordx2 v[5:6], v2, s[6:7] offset:24 glc dlc
	s_waitcnt vmcnt(0)
	buffer_gl1_inv
	buffer_gl0_inv
	s_clause 0x1
	global_load_dwordx2 v[3:4], v2, s[6:7] offset:40
	global_load_dwordx2 v[7:8], v2, s[6:7]
	s_waitcnt vmcnt(1)
	v_and_b32_e32 v4, v4, v6
	v_and_b32_e32 v3, v3, v5
	v_mul_lo_u32 v4, v4, 24
	v_mul_hi_u32 v9, v3, 24
	v_mul_lo_u32 v3, v3, 24
	v_add_nc_u32_e32 v4, v9, v4
	s_waitcnt vmcnt(0)
	v_add_co_u32 v3, vcc_lo, v7, v3
	v_add_co_ci_u32_e64 v4, null, v8, v4, vcc_lo
	global_load_dwordx2 v[3:4], v[3:4], off glc dlc
	s_waitcnt vmcnt(0)
	global_atomic_cmpswap_x2 v[8:9], v2, v[3:6], s[6:7] offset:24 glc
	s_waitcnt vmcnt(0)
	buffer_gl1_inv
	buffer_gl0_inv
	v_cmpx_ne_u64_e64 v[8:9], v[5:6]
	s_cbranch_execz .LBB6_2469
; %bb.2466:
	s_mov_b32 s9, 0
.LBB6_2467:                             ; =>This Inner Loop Header: Depth=1
	s_sleep 1
	s_clause 0x1
	global_load_dwordx2 v[3:4], v2, s[6:7] offset:40
	global_load_dwordx2 v[10:11], v2, s[6:7]
	v_mov_b32_e32 v5, v8
	v_mov_b32_e32 v6, v9
	s_waitcnt vmcnt(1)
	v_and_b32_e32 v3, v3, v5
	v_and_b32_e32 v4, v4, v6
	s_waitcnt vmcnt(0)
	v_mad_u64_u32 v[7:8], null, v3, 24, v[10:11]
	v_mov_b32_e32 v3, v8
	v_mad_u64_u32 v[3:4], null, v4, 24, v[3:4]
	v_mov_b32_e32 v8, v3
	global_load_dwordx2 v[3:4], v[7:8], off glc dlc
	s_waitcnt vmcnt(0)
	global_atomic_cmpswap_x2 v[8:9], v2, v[3:6], s[6:7] offset:24 glc
	s_waitcnt vmcnt(0)
	buffer_gl1_inv
	buffer_gl0_inv
	v_cmp_eq_u64_e32 vcc_lo, v[8:9], v[5:6]
	s_or_b32 s9, vcc_lo, s9
	s_andn2_b32 exec_lo, exec_lo, s9
	s_cbranch_execnz .LBB6_2467
; %bb.2468:
	s_or_b32 exec_lo, exec_lo, s9
.LBB6_2469:
	s_or_b32 exec_lo, exec_lo, s8
.LBB6_2470:
	s_or_b32 exec_lo, exec_lo, s5
	v_mov_b32_e32 v2, 0
	v_readfirstlane_b32 s9, v9
	v_readfirstlane_b32 s8, v8
	s_mov_b32 s5, exec_lo
	s_clause 0x1
	global_load_dwordx2 v[10:11], v2, s[6:7] offset:40
	global_load_dwordx4 v[4:7], v2, s[6:7]
	s_waitcnt vmcnt(1)
	v_readfirstlane_b32 s10, v10
	v_readfirstlane_b32 s11, v11
	s_and_b64 s[10:11], s[10:11], s[8:9]
	s_mul_i32 s12, s11, 24
	s_mul_hi_u32 s13, s10, 24
	s_mul_i32 s14, s10, 24
	s_add_i32 s13, s13, s12
	s_waitcnt vmcnt(0)
	v_add_co_u32 v8, vcc_lo, v4, s14
	v_add_co_ci_u32_e64 v9, null, s13, v5, vcc_lo
	s_and_saveexec_b32 s12, s4
	s_cbranch_execz .LBB6_2472
; %bb.2471:
	v_mov_b32_e32 v10, s5
	v_mov_b32_e32 v11, v2
	;; [unrolled: 1-line block ×4, first 2 shown]
	global_store_dwordx4 v[8:9], v[10:13], off offset:8
.LBB6_2472:
	s_or_b32 exec_lo, exec_lo, s12
	s_lshl_b64 s[10:11], s[10:11], 12
	s_mov_b32 s12, 0
	v_add_co_u32 v6, vcc_lo, v6, s10
	v_add_co_ci_u32_e64 v7, null, s11, v7, vcc_lo
	s_mov_b32 s13, s12
	s_mov_b32 s14, s12
	s_mov_b32 s15, s12
	v_and_or_b32 v0, 0xffffff1d, v0, 34
	v_mov_b32_e32 v3, v2
	v_readfirstlane_b32 s10, v6
	v_readfirstlane_b32 s11, v7
	v_mov_b32_e32 v10, s12
	v_mov_b32_e32 v11, s13
	;; [unrolled: 1-line block ×4, first 2 shown]
	global_store_dwordx4 v28, v[0:3], s[10:11]
	global_store_dwordx4 v28, v[10:13], s[10:11] offset:16
	global_store_dwordx4 v28, v[10:13], s[10:11] offset:32
	;; [unrolled: 1-line block ×3, first 2 shown]
	s_and_saveexec_b32 s5, s4
	s_cbranch_execz .LBB6_2480
; %bb.2473:
	v_mov_b32_e32 v6, 0
	v_mov_b32_e32 v10, s8
	v_mov_b32_e32 v11, s9
	s_clause 0x1
	global_load_dwordx2 v[12:13], v6, s[6:7] offset:32 glc dlc
	global_load_dwordx2 v[0:1], v6, s[6:7] offset:40
	s_waitcnt vmcnt(0)
	v_readfirstlane_b32 s10, v0
	v_readfirstlane_b32 s11, v1
	s_and_b64 s[10:11], s[10:11], s[8:9]
	s_mul_i32 s11, s11, 24
	s_mul_hi_u32 s12, s10, 24
	s_mul_i32 s10, s10, 24
	s_add_i32 s12, s12, s11
	v_add_co_u32 v4, vcc_lo, v4, s10
	v_add_co_ci_u32_e64 v5, null, s12, v5, vcc_lo
	s_mov_b32 s10, exec_lo
	global_store_dwordx2 v[4:5], v[12:13], off
	s_waitcnt_vscnt null, 0x0
	global_atomic_cmpswap_x2 v[2:3], v6, v[10:13], s[6:7] offset:32 glc
	s_waitcnt vmcnt(0)
	v_cmpx_ne_u64_e64 v[2:3], v[12:13]
	s_cbranch_execz .LBB6_2476
; %bb.2474:
	s_mov_b32 s11, 0
.LBB6_2475:                             ; =>This Inner Loop Header: Depth=1
	v_mov_b32_e32 v0, s8
	v_mov_b32_e32 v1, s9
	s_sleep 1
	global_store_dwordx2 v[4:5], v[2:3], off
	s_waitcnt_vscnt null, 0x0
	global_atomic_cmpswap_x2 v[0:1], v6, v[0:3], s[6:7] offset:32 glc
	s_waitcnt vmcnt(0)
	v_cmp_eq_u64_e32 vcc_lo, v[0:1], v[2:3]
	v_mov_b32_e32 v3, v1
	v_mov_b32_e32 v2, v0
	s_or_b32 s11, vcc_lo, s11
	s_andn2_b32 exec_lo, exec_lo, s11
	s_cbranch_execnz .LBB6_2475
.LBB6_2476:
	s_or_b32 exec_lo, exec_lo, s10
	v_mov_b32_e32 v3, 0
	s_mov_b32 s11, exec_lo
	s_mov_b32 s10, exec_lo
	v_mbcnt_lo_u32_b32 v2, s11, 0
	global_load_dwordx2 v[0:1], v3, s[6:7] offset:16
	v_cmpx_eq_u32_e32 0, v2
	s_cbranch_execz .LBB6_2478
; %bb.2477:
	s_bcnt1_i32_b32 s11, s11
	v_mov_b32_e32 v2, s11
	s_waitcnt vmcnt(0)
	global_atomic_add_x2 v[0:1], v[2:3], off offset:8
.LBB6_2478:
	s_or_b32 exec_lo, exec_lo, s10
	s_waitcnt vmcnt(0)
	global_load_dwordx2 v[2:3], v[0:1], off offset:16
	s_waitcnt vmcnt(0)
	v_cmp_eq_u64_e32 vcc_lo, 0, v[2:3]
	s_cbranch_vccnz .LBB6_2480
; %bb.2479:
	global_load_dword v0, v[0:1], off offset:24
	v_mov_b32_e32 v1, 0
	s_waitcnt vmcnt(0)
	v_readfirstlane_b32 s10, v0
	s_waitcnt_vscnt null, 0x0
	global_store_dwordx2 v[2:3], v[0:1], off
	s_and_b32 m0, s10, 0x7fffff
	s_sendmsg sendmsg(MSG_INTERRUPT)
.LBB6_2480:
	s_or_b32 exec_lo, exec_lo, s5
	s_branch .LBB6_2484
.LBB6_2481:                             ;   in Loop: Header=BB6_2484 Depth=1
	s_or_b32 exec_lo, exec_lo, s5
	v_readfirstlane_b32 s5, v0
	s_cmp_eq_u32 s5, 0
	s_cbranch_scc1 .LBB6_2483
; %bb.2482:                             ;   in Loop: Header=BB6_2484 Depth=1
	s_sleep 1
	s_cbranch_execnz .LBB6_2484
	s_branch .LBB6_2486
.LBB6_2483:
	s_branch .LBB6_2486
.LBB6_2484:                             ; =>This Inner Loop Header: Depth=1
	v_mov_b32_e32 v0, 1
	s_and_saveexec_b32 s5, s4
	s_cbranch_execz .LBB6_2481
; %bb.2485:                             ;   in Loop: Header=BB6_2484 Depth=1
	global_load_dword v0, v[8:9], off offset:20 glc dlc
	s_waitcnt vmcnt(0)
	buffer_gl1_inv
	buffer_gl0_inv
	v_and_b32_e32 v0, 1, v0
	s_branch .LBB6_2481
.LBB6_2486:
	s_and_saveexec_b32 s10, s4
	s_cbranch_execz .LBB6_2490
; %bb.2487:
	v_mov_b32_e32 v6, 0
	s_clause 0x2
	global_load_dwordx2 v[0:1], v6, s[6:7] offset:40
	global_load_dwordx2 v[9:10], v6, s[6:7] offset:24 glc dlc
	global_load_dwordx2 v[2:3], v6, s[6:7]
	s_waitcnt vmcnt(2)
	v_readfirstlane_b32 s12, v0
	v_readfirstlane_b32 s13, v1
	s_add_u32 s11, s12, 1
	s_addc_u32 s14, s13, 0
	s_add_u32 s4, s11, s8
	s_addc_u32 s5, s14, s9
	s_cmp_eq_u64 s[4:5], 0
	s_cselect_b32 s5, s14, s5
	s_cselect_b32 s4, s11, s4
	v_mov_b32_e32 v8, s5
	s_and_b64 s[8:9], s[4:5], s[12:13]
	v_mov_b32_e32 v7, s4
	s_mul_i32 s9, s9, 24
	s_mul_hi_u32 s11, s8, 24
	s_mul_i32 s8, s8, 24
	s_add_i32 s11, s11, s9
	s_waitcnt vmcnt(0)
	v_add_co_u32 v4, vcc_lo, v2, s8
	v_add_co_ci_u32_e64 v5, null, s11, v3, vcc_lo
	global_store_dwordx2 v[4:5], v[9:10], off
	s_waitcnt_vscnt null, 0x0
	global_atomic_cmpswap_x2 v[2:3], v6, v[7:10], s[6:7] offset:24 glc
	s_waitcnt vmcnt(0)
	v_cmp_ne_u64_e32 vcc_lo, v[2:3], v[9:10]
	s_and_b32 exec_lo, exec_lo, vcc_lo
	s_cbranch_execz .LBB6_2490
; %bb.2488:
	s_mov_b32 s8, 0
.LBB6_2489:                             ; =>This Inner Loop Header: Depth=1
	v_mov_b32_e32 v0, s4
	v_mov_b32_e32 v1, s5
	s_sleep 1
	global_store_dwordx2 v[4:5], v[2:3], off
	s_waitcnt_vscnt null, 0x0
	global_atomic_cmpswap_x2 v[0:1], v6, v[0:3], s[6:7] offset:24 glc
	s_waitcnt vmcnt(0)
	v_cmp_eq_u64_e32 vcc_lo, v[0:1], v[2:3]
	v_mov_b32_e32 v3, v1
	v_mov_b32_e32 v2, v0
	s_or_b32 s8, vcc_lo, s8
	s_andn2_b32 exec_lo, exec_lo, s8
	s_cbranch_execnz .LBB6_2489
.LBB6_2490:
	s_or_b32 exec_lo, exec_lo, s10
.LBB6_2491:
	s_getpc_b64 s[4:5]
	s_add_u32 s4, s4, .str.29@rel32@lo+4
	s_addc_u32 s5, s5, .str.29@rel32@hi+12
	s_getpc_b64 s[6:7]
	s_add_u32 s6, s6, .str.19@rel32@lo+4
	s_addc_u32 s7, s7, .str.19@rel32@hi+12
	s_getpc_b64 s[8:9]
	s_add_u32 s8, s8, __PRETTY_FUNCTION__._ZN7VecsMemIjLi8192EE5fetchEi@rel32@lo+4
	s_addc_u32 s9, s9, __PRETTY_FUNCTION__._ZN7VecsMemIjLi8192EE5fetchEi@rel32@hi+12
	s_waitcnt vmcnt(0)
	v_mov_b32_e32 v0, s4
	v_mov_b32_e32 v1, s5
	;; [unrolled: 1-line block ×7, first 2 shown]
	s_getpc_b64 s[10:11]
	s_add_u32 s10, s10, __assert_fail@rel32@lo+4
	s_addc_u32 s11, s11, __assert_fail@rel32@hi+12
	s_mov_b64 s[8:9], s[52:53]
	s_swappc_b64 s[30:31], s[10:11]
	s_or_b32 s27, s27, exec_lo
.LBB6_2492:
	s_or_b32 exec_lo, exec_lo, s21
	s_andn2_b32 s4, s23, exec_lo
	s_and_b32 s5, s27, exec_lo
	s_or_b32 s23, s4, s5
.LBB6_2493:
	s_or_b32 exec_lo, exec_lo, s41
	s_andn2_b32 s4, s22, exec_lo
	s_and_b32 s5, s23, exec_lo
	s_or_b32 s22, s4, s5
.LBB6_2494:
	s_or_b32 exec_lo, exec_lo, s40
	s_and_saveexec_b32 s4, s26
	s_xor_b32 s21, exec_lo, s4
	s_cbranch_execz .LBB6_2630
; %bb.2495:
	s_load_dwordx2 s[6:7], s[52:53], 0x50
	v_mbcnt_lo_u32_b32 v29, -1, 0
	v_mov_b32_e32 v6, 0
	v_mov_b32_e32 v7, 0
	v_readfirstlane_b32 s4, v29
	v_cmp_eq_u32_e64 s4, s4, v29
	s_and_saveexec_b32 s5, s4
	s_cbranch_execz .LBB6_2501
; %bb.2496:
	v_mov_b32_e32 v0, 0
	s_mov_b32 s8, exec_lo
	s_waitcnt lgkmcnt(0)
	global_load_dwordx2 v[3:4], v0, s[6:7] offset:24 glc dlc
	s_waitcnt vmcnt(0)
	buffer_gl1_inv
	buffer_gl0_inv
	s_clause 0x1
	global_load_dwordx2 v[1:2], v0, s[6:7] offset:40
	global_load_dwordx2 v[5:6], v0, s[6:7]
	s_waitcnt vmcnt(1)
	v_and_b32_e32 v2, v2, v4
	v_and_b32_e32 v1, v1, v3
	v_mul_lo_u32 v2, v2, 24
	v_mul_hi_u32 v7, v1, 24
	v_mul_lo_u32 v1, v1, 24
	v_add_nc_u32_e32 v2, v7, v2
	s_waitcnt vmcnt(0)
	v_add_co_u32 v1, vcc_lo, v5, v1
	v_add_co_ci_u32_e64 v2, null, v6, v2, vcc_lo
	global_load_dwordx2 v[1:2], v[1:2], off glc dlc
	s_waitcnt vmcnt(0)
	global_atomic_cmpswap_x2 v[6:7], v0, v[1:4], s[6:7] offset:24 glc
	s_waitcnt vmcnt(0)
	buffer_gl1_inv
	buffer_gl0_inv
	v_cmpx_ne_u64_e64 v[6:7], v[3:4]
	s_cbranch_execz .LBB6_2500
; %bb.2497:
	s_mov_b32 s9, 0
	.p2align	6
.LBB6_2498:                             ; =>This Inner Loop Header: Depth=1
	s_sleep 1
	s_clause 0x1
	global_load_dwordx2 v[1:2], v0, s[6:7] offset:40
	global_load_dwordx2 v[8:9], v0, s[6:7]
	v_mov_b32_e32 v3, v6
	v_mov_b32_e32 v4, v7
	s_waitcnt vmcnt(1)
	v_and_b32_e32 v1, v1, v3
	v_and_b32_e32 v2, v2, v4
	s_waitcnt vmcnt(0)
	v_mad_u64_u32 v[5:6], null, v1, 24, v[8:9]
	v_mov_b32_e32 v1, v6
	v_mad_u64_u32 v[1:2], null, v2, 24, v[1:2]
	v_mov_b32_e32 v6, v1
	global_load_dwordx2 v[1:2], v[5:6], off glc dlc
	s_waitcnt vmcnt(0)
	global_atomic_cmpswap_x2 v[6:7], v0, v[1:4], s[6:7] offset:24 glc
	s_waitcnt vmcnt(0)
	buffer_gl1_inv
	buffer_gl0_inv
	v_cmp_eq_u64_e32 vcc_lo, v[6:7], v[3:4]
	s_or_b32 s9, vcc_lo, s9
	s_andn2_b32 exec_lo, exec_lo, s9
	s_cbranch_execnz .LBB6_2498
; %bb.2499:
	s_or_b32 exec_lo, exec_lo, s9
.LBB6_2500:
	s_or_b32 exec_lo, exec_lo, s8
.LBB6_2501:
	s_or_b32 exec_lo, exec_lo, s5
	v_mov_b32_e32 v5, 0
	v_readfirstlane_b32 s9, v7
	v_readfirstlane_b32 s8, v6
	s_mov_b32 s5, exec_lo
	s_waitcnt lgkmcnt(0)
	s_clause 0x1
	global_load_dwordx2 v[8:9], v5, s[6:7] offset:40
	global_load_dwordx4 v[0:3], v5, s[6:7]
	s_waitcnt vmcnt(1)
	v_readfirstlane_b32 s10, v8
	v_readfirstlane_b32 s11, v9
	s_and_b64 s[10:11], s[10:11], s[8:9]
	s_mul_i32 s12, s11, 24
	s_mul_hi_u32 s13, s10, 24
	s_mul_i32 s14, s10, 24
	s_add_i32 s13, s13, s12
	s_waitcnt vmcnt(0)
	v_add_co_u32 v8, vcc_lo, v0, s14
	v_add_co_ci_u32_e64 v9, null, s13, v1, vcc_lo
	s_and_saveexec_b32 s12, s4
	s_cbranch_execz .LBB6_2503
; %bb.2502:
	v_mov_b32_e32 v4, s5
	v_mov_b32_e32 v6, 2
	;; [unrolled: 1-line block ×3, first 2 shown]
	global_store_dwordx4 v[8:9], v[4:7], off offset:8
.LBB6_2503:
	s_or_b32 exec_lo, exec_lo, s12
	s_lshl_b64 s[10:11], s[10:11], 12
	v_lshlrev_b32_e32 v28, 6, v29
	v_add_co_u32 v2, vcc_lo, v2, s10
	v_add_co_ci_u32_e64 v3, null, s11, v3, vcc_lo
	s_mov_b32 s12, 0
	v_add_co_u32 v10, vcc_lo, v2, v28
	s_mov_b32 s13, s12
	s_mov_b32 s14, s12
	;; [unrolled: 1-line block ×3, first 2 shown]
	v_mov_b32_e32 v4, 33
	v_mov_b32_e32 v6, v5
	;; [unrolled: 1-line block ×3, first 2 shown]
	v_readfirstlane_b32 s10, v2
	v_readfirstlane_b32 s11, v3
	v_mov_b32_e32 v12, s12
	v_add_co_ci_u32_e64 v11, null, 0, v3, vcc_lo
	v_mov_b32_e32 v13, s13
	v_mov_b32_e32 v14, s14
	;; [unrolled: 1-line block ×3, first 2 shown]
	global_store_dwordx4 v28, v[4:7], s[10:11]
	global_store_dwordx4 v28, v[12:15], s[10:11] offset:16
	global_store_dwordx4 v28, v[12:15], s[10:11] offset:32
	;; [unrolled: 1-line block ×3, first 2 shown]
	s_and_saveexec_b32 s5, s4
	s_cbranch_execz .LBB6_2511
; %bb.2504:
	v_mov_b32_e32 v6, 0
	v_mov_b32_e32 v12, s8
	;; [unrolled: 1-line block ×3, first 2 shown]
	s_mov_b32 s10, exec_lo
	s_clause 0x1
	global_load_dwordx2 v[14:15], v6, s[6:7] offset:32 glc dlc
	global_load_dwordx2 v[2:3], v6, s[6:7] offset:40
	s_waitcnt vmcnt(0)
	v_and_b32_e32 v3, s9, v3
	v_and_b32_e32 v2, s8, v2
	v_mul_lo_u32 v3, v3, 24
	v_mul_hi_u32 v4, v2, 24
	v_mul_lo_u32 v2, v2, 24
	v_add_nc_u32_e32 v3, v4, v3
	v_add_co_u32 v4, vcc_lo, v0, v2
	v_add_co_ci_u32_e64 v5, null, v1, v3, vcc_lo
	global_store_dwordx2 v[4:5], v[14:15], off
	s_waitcnt_vscnt null, 0x0
	global_atomic_cmpswap_x2 v[2:3], v6, v[12:15], s[6:7] offset:32 glc
	s_waitcnt vmcnt(0)
	v_cmpx_ne_u64_e64 v[2:3], v[14:15]
	s_cbranch_execz .LBB6_2507
; %bb.2505:
	s_mov_b32 s11, 0
.LBB6_2506:                             ; =>This Inner Loop Header: Depth=1
	v_mov_b32_e32 v0, s8
	v_mov_b32_e32 v1, s9
	s_sleep 1
	global_store_dwordx2 v[4:5], v[2:3], off
	s_waitcnt_vscnt null, 0x0
	global_atomic_cmpswap_x2 v[0:1], v6, v[0:3], s[6:7] offset:32 glc
	s_waitcnt vmcnt(0)
	v_cmp_eq_u64_e32 vcc_lo, v[0:1], v[2:3]
	v_mov_b32_e32 v3, v1
	v_mov_b32_e32 v2, v0
	s_or_b32 s11, vcc_lo, s11
	s_andn2_b32 exec_lo, exec_lo, s11
	s_cbranch_execnz .LBB6_2506
.LBB6_2507:
	s_or_b32 exec_lo, exec_lo, s10
	v_mov_b32_e32 v3, 0
	s_mov_b32 s11, exec_lo
	s_mov_b32 s10, exec_lo
	v_mbcnt_lo_u32_b32 v2, s11, 0
	global_load_dwordx2 v[0:1], v3, s[6:7] offset:16
	v_cmpx_eq_u32_e32 0, v2
	s_cbranch_execz .LBB6_2509
; %bb.2508:
	s_bcnt1_i32_b32 s11, s11
	v_mov_b32_e32 v2, s11
	s_waitcnt vmcnt(0)
	global_atomic_add_x2 v[0:1], v[2:3], off offset:8
.LBB6_2509:
	s_or_b32 exec_lo, exec_lo, s10
	s_waitcnt vmcnt(0)
	global_load_dwordx2 v[2:3], v[0:1], off offset:16
	s_waitcnt vmcnt(0)
	v_cmp_eq_u64_e32 vcc_lo, 0, v[2:3]
	s_cbranch_vccnz .LBB6_2511
; %bb.2510:
	global_load_dword v0, v[0:1], off offset:24
	v_mov_b32_e32 v1, 0
	s_waitcnt vmcnt(0)
	v_readfirstlane_b32 s10, v0
	s_waitcnt_vscnt null, 0x0
	global_store_dwordx2 v[2:3], v[0:1], off
	s_and_b32 m0, s10, 0x7fffff
	s_sendmsg sendmsg(MSG_INTERRUPT)
.LBB6_2511:
	s_or_b32 exec_lo, exec_lo, s5
	s_branch .LBB6_2515
	.p2align	6
.LBB6_2512:                             ;   in Loop: Header=BB6_2515 Depth=1
	s_or_b32 exec_lo, exec_lo, s5
	v_readfirstlane_b32 s5, v0
	s_cmp_eq_u32 s5, 0
	s_cbranch_scc1 .LBB6_2514
; %bb.2513:                             ;   in Loop: Header=BB6_2515 Depth=1
	s_sleep 1
	s_cbranch_execnz .LBB6_2515
	s_branch .LBB6_2517
	.p2align	6
.LBB6_2514:
	s_branch .LBB6_2517
.LBB6_2515:                             ; =>This Inner Loop Header: Depth=1
	v_mov_b32_e32 v0, 1
	s_and_saveexec_b32 s5, s4
	s_cbranch_execz .LBB6_2512
; %bb.2516:                             ;   in Loop: Header=BB6_2515 Depth=1
	global_load_dword v0, v[8:9], off offset:20 glc dlc
	s_waitcnt vmcnt(0)
	buffer_gl1_inv
	buffer_gl0_inv
	v_and_b32_e32 v0, 1, v0
	s_branch .LBB6_2512
.LBB6_2517:
	global_load_dwordx2 v[0:1], v[10:11], off
	s_and_saveexec_b32 s10, s4
	s_cbranch_execz .LBB6_2521
; %bb.2518:
	v_mov_b32_e32 v8, 0
	s_clause 0x2
	global_load_dwordx2 v[2:3], v8, s[6:7] offset:40
	global_load_dwordx2 v[11:12], v8, s[6:7] offset:24 glc dlc
	global_load_dwordx2 v[4:5], v8, s[6:7]
	s_waitcnt vmcnt(2)
	v_readfirstlane_b32 s12, v2
	v_readfirstlane_b32 s13, v3
	s_add_u32 s11, s12, 1
	s_addc_u32 s14, s13, 0
	s_add_u32 s4, s11, s8
	s_addc_u32 s5, s14, s9
	s_cmp_eq_u64 s[4:5], 0
	s_cselect_b32 s5, s14, s5
	s_cselect_b32 s4, s11, s4
	v_mov_b32_e32 v10, s5
	s_and_b64 s[8:9], s[4:5], s[12:13]
	v_mov_b32_e32 v9, s4
	s_mul_i32 s9, s9, 24
	s_mul_hi_u32 s11, s8, 24
	s_mul_i32 s8, s8, 24
	s_add_i32 s11, s11, s9
	s_waitcnt vmcnt(0)
	v_add_co_u32 v6, vcc_lo, v4, s8
	v_add_co_ci_u32_e64 v7, null, s11, v5, vcc_lo
	global_store_dwordx2 v[6:7], v[11:12], off
	s_waitcnt_vscnt null, 0x0
	global_atomic_cmpswap_x2 v[4:5], v8, v[9:12], s[6:7] offset:24 glc
	s_waitcnt vmcnt(0)
	v_cmp_ne_u64_e32 vcc_lo, v[4:5], v[11:12]
	s_and_b32 exec_lo, exec_lo, vcc_lo
	s_cbranch_execz .LBB6_2521
; %bb.2519:
	s_mov_b32 s8, 0
.LBB6_2520:                             ; =>This Inner Loop Header: Depth=1
	v_mov_b32_e32 v2, s4
	v_mov_b32_e32 v3, s5
	s_sleep 1
	global_store_dwordx2 v[6:7], v[4:5], off
	s_waitcnt_vscnt null, 0x0
	global_atomic_cmpswap_x2 v[2:3], v8, v[2:5], s[6:7] offset:24 glc
	s_waitcnt vmcnt(0)
	v_cmp_eq_u64_e32 vcc_lo, v[2:3], v[4:5]
	v_mov_b32_e32 v5, v3
	v_mov_b32_e32 v4, v2
	s_or_b32 s8, vcc_lo, s8
	s_andn2_b32 exec_lo, exec_lo, s8
	s_cbranch_execnz .LBB6_2520
.LBB6_2521:
	s_or_b32 exec_lo, exec_lo, s10
	s_getpc_b64 s[8:9]
	s_add_u32 s8, s8, .str.28@rel32@lo+4
	s_addc_u32 s9, s9, .str.28@rel32@hi+12
	s_cmp_lg_u64 s[8:9], 0
	s_cbranch_scc0 .LBB6_2600
; %bb.2522:
	s_waitcnt vmcnt(0)
	v_and_b32_e32 v6, -3, v0
	v_mov_b32_e32 v7, v1
	v_mov_b32_e32 v3, 0
	;; [unrolled: 1-line block ×4, first 2 shown]
	s_mov_b64 s[10:11], 35
	s_branch .LBB6_2524
.LBB6_2523:                             ;   in Loop: Header=BB6_2524 Depth=1
	s_or_b32 exec_lo, exec_lo, s16
	s_sub_u32 s10, s10, s12
	s_subb_u32 s11, s11, s13
	s_add_u32 s8, s8, s12
	s_addc_u32 s9, s9, s13
	s_cmp_lg_u64 s[10:11], 0
	s_cbranch_scc0 .LBB6_2599
.LBB6_2524:                             ; =>This Loop Header: Depth=1
                                        ;     Child Loop BB6_2527 Depth 2
                                        ;     Child Loop BB6_2534 Depth 2
	;; [unrolled: 1-line block ×11, first 2 shown]
	v_cmp_lt_u64_e64 s4, s[10:11], 56
	v_cmp_gt_u64_e64 s14, s[10:11], 7
	s_and_b32 s4, s4, exec_lo
	s_cselect_b32 s13, s11, 0
	s_cselect_b32 s12, s10, 56
	s_add_u32 s4, s8, 8
	s_addc_u32 s5, s9, 0
	s_and_b32 vcc_lo, exec_lo, s14
	s_cbranch_vccnz .LBB6_2529
; %bb.2525:                             ;   in Loop: Header=BB6_2524 Depth=1
	s_waitcnt vmcnt(0)
	v_mov_b32_e32 v8, 0
	v_mov_b32_e32 v9, 0
	s_cmp_eq_u64 s[10:11], 0
	s_cbranch_scc1 .LBB6_2528
; %bb.2526:                             ;   in Loop: Header=BB6_2524 Depth=1
	s_lshl_b64 s[4:5], s[12:13], 3
	s_mov_b64 s[14:15], 0
	s_mov_b64 s[16:17], s[8:9]
.LBB6_2527:                             ;   Parent Loop BB6_2524 Depth=1
                                        ; =>  This Inner Loop Header: Depth=2
	global_load_ubyte v2, v3, s[16:17]
	s_waitcnt vmcnt(0)
	v_and_b32_e32 v2, 0xffff, v2
	v_lshlrev_b64 v[10:11], s14, v[2:3]
	s_add_u32 s14, s14, 8
	s_addc_u32 s15, s15, 0
	s_add_u32 s16, s16, 1
	s_addc_u32 s17, s17, 0
	s_cmp_lg_u32 s4, s14
	v_or_b32_e32 v8, v10, v8
	v_or_b32_e32 v9, v11, v9
	s_cbranch_scc1 .LBB6_2527
.LBB6_2528:                             ;   in Loop: Header=BB6_2524 Depth=1
	s_mov_b64 s[4:5], s[8:9]
	s_mov_b32 s18, 0
	s_cbranch_execz .LBB6_2530
	s_branch .LBB6_2531
.LBB6_2529:                             ;   in Loop: Header=BB6_2524 Depth=1
	s_mov_b32 s18, 0
.LBB6_2530:                             ;   in Loop: Header=BB6_2524 Depth=1
	global_load_dwordx2 v[8:9], v3, s[8:9]
	s_add_i32 s18, s12, -8
.LBB6_2531:                             ;   in Loop: Header=BB6_2524 Depth=1
	s_add_u32 s14, s4, 8
	s_addc_u32 s15, s5, 0
	s_cmp_gt_u32 s18, 7
	s_cbranch_scc1 .LBB6_2536
; %bb.2532:                             ;   in Loop: Header=BB6_2524 Depth=1
	v_mov_b32_e32 v10, 0
	v_mov_b32_e32 v11, 0
	s_cmp_eq_u32 s18, 0
	s_cbranch_scc1 .LBB6_2535
; %bb.2533:                             ;   in Loop: Header=BB6_2524 Depth=1
	s_mov_b64 s[14:15], 0
	s_mov_b64 s[16:17], 0
.LBB6_2534:                             ;   Parent Loop BB6_2524 Depth=1
                                        ; =>  This Inner Loop Header: Depth=2
	s_add_u32 s26, s4, s16
	s_addc_u32 s27, s5, s17
	s_add_u32 s16, s16, 1
	global_load_ubyte v2, v3, s[26:27]
	s_addc_u32 s17, s17, 0
	s_waitcnt vmcnt(0)
	v_and_b32_e32 v2, 0xffff, v2
	v_lshlrev_b64 v[12:13], s14, v[2:3]
	s_add_u32 s14, s14, 8
	s_addc_u32 s15, s15, 0
	s_cmp_lg_u32 s18, s16
	v_or_b32_e32 v10, v12, v10
	v_or_b32_e32 v11, v13, v11
	s_cbranch_scc1 .LBB6_2534
.LBB6_2535:                             ;   in Loop: Header=BB6_2524 Depth=1
	s_mov_b64 s[14:15], s[4:5]
	s_mov_b32 s19, 0
	s_cbranch_execz .LBB6_2537
	s_branch .LBB6_2538
.LBB6_2536:                             ;   in Loop: Header=BB6_2524 Depth=1
                                        ; implicit-def: $vgpr10_vgpr11
	s_mov_b32 s19, 0
.LBB6_2537:                             ;   in Loop: Header=BB6_2524 Depth=1
	global_load_dwordx2 v[10:11], v3, s[4:5]
	s_add_i32 s19, s18, -8
.LBB6_2538:                             ;   in Loop: Header=BB6_2524 Depth=1
	s_add_u32 s4, s14, 8
	s_addc_u32 s5, s15, 0
	s_cmp_gt_u32 s19, 7
	s_cbranch_scc1 .LBB6_2543
; %bb.2539:                             ;   in Loop: Header=BB6_2524 Depth=1
	v_mov_b32_e32 v12, 0
	v_mov_b32_e32 v13, 0
	s_cmp_eq_u32 s19, 0
	s_cbranch_scc1 .LBB6_2542
; %bb.2540:                             ;   in Loop: Header=BB6_2524 Depth=1
	s_mov_b64 s[4:5], 0
	s_mov_b64 s[16:17], 0
.LBB6_2541:                             ;   Parent Loop BB6_2524 Depth=1
                                        ; =>  This Inner Loop Header: Depth=2
	s_add_u32 s26, s14, s16
	s_addc_u32 s27, s15, s17
	s_add_u32 s16, s16, 1
	global_load_ubyte v2, v3, s[26:27]
	s_addc_u32 s17, s17, 0
	s_waitcnt vmcnt(0)
	v_and_b32_e32 v2, 0xffff, v2
	v_lshlrev_b64 v[14:15], s4, v[2:3]
	s_add_u32 s4, s4, 8
	s_addc_u32 s5, s5, 0
	s_cmp_lg_u32 s19, s16
	v_or_b32_e32 v12, v14, v12
	v_or_b32_e32 v13, v15, v13
	s_cbranch_scc1 .LBB6_2541
.LBB6_2542:                             ;   in Loop: Header=BB6_2524 Depth=1
	s_mov_b64 s[4:5], s[14:15]
	s_mov_b32 s18, 0
	s_cbranch_execz .LBB6_2544
	s_branch .LBB6_2545
.LBB6_2543:                             ;   in Loop: Header=BB6_2524 Depth=1
	s_mov_b32 s18, 0
.LBB6_2544:                             ;   in Loop: Header=BB6_2524 Depth=1
	global_load_dwordx2 v[12:13], v3, s[14:15]
	s_add_i32 s18, s19, -8
.LBB6_2545:                             ;   in Loop: Header=BB6_2524 Depth=1
	s_add_u32 s14, s4, 8
	s_addc_u32 s15, s5, 0
	s_cmp_gt_u32 s18, 7
	s_cbranch_scc1 .LBB6_2550
; %bb.2546:                             ;   in Loop: Header=BB6_2524 Depth=1
	v_mov_b32_e32 v14, 0
	v_mov_b32_e32 v15, 0
	s_cmp_eq_u32 s18, 0
	s_cbranch_scc1 .LBB6_2549
; %bb.2547:                             ;   in Loop: Header=BB6_2524 Depth=1
	s_mov_b64 s[14:15], 0
	s_mov_b64 s[16:17], 0
.LBB6_2548:                             ;   Parent Loop BB6_2524 Depth=1
                                        ; =>  This Inner Loop Header: Depth=2
	s_add_u32 s26, s4, s16
	s_addc_u32 s27, s5, s17
	s_add_u32 s16, s16, 1
	global_load_ubyte v2, v3, s[26:27]
	s_addc_u32 s17, s17, 0
	s_waitcnt vmcnt(0)
	v_and_b32_e32 v2, 0xffff, v2
	v_lshlrev_b64 v[16:17], s14, v[2:3]
	s_add_u32 s14, s14, 8
	s_addc_u32 s15, s15, 0
	s_cmp_lg_u32 s18, s16
	v_or_b32_e32 v14, v16, v14
	v_or_b32_e32 v15, v17, v15
	s_cbranch_scc1 .LBB6_2548
.LBB6_2549:                             ;   in Loop: Header=BB6_2524 Depth=1
	s_mov_b64 s[14:15], s[4:5]
	s_mov_b32 s19, 0
	s_cbranch_execz .LBB6_2551
	s_branch .LBB6_2552
.LBB6_2550:                             ;   in Loop: Header=BB6_2524 Depth=1
                                        ; implicit-def: $vgpr14_vgpr15
	s_mov_b32 s19, 0
.LBB6_2551:                             ;   in Loop: Header=BB6_2524 Depth=1
	global_load_dwordx2 v[14:15], v3, s[4:5]
	s_add_i32 s19, s18, -8
.LBB6_2552:                             ;   in Loop: Header=BB6_2524 Depth=1
	s_add_u32 s4, s14, 8
	s_addc_u32 s5, s15, 0
	s_cmp_gt_u32 s19, 7
	s_cbranch_scc1 .LBB6_2557
; %bb.2553:                             ;   in Loop: Header=BB6_2524 Depth=1
	v_mov_b32_e32 v16, 0
	v_mov_b32_e32 v17, 0
	s_cmp_eq_u32 s19, 0
	s_cbranch_scc1 .LBB6_2556
; %bb.2554:                             ;   in Loop: Header=BB6_2524 Depth=1
	s_mov_b64 s[4:5], 0
	s_mov_b64 s[16:17], 0
.LBB6_2555:                             ;   Parent Loop BB6_2524 Depth=1
                                        ; =>  This Inner Loop Header: Depth=2
	s_add_u32 s26, s14, s16
	s_addc_u32 s27, s15, s17
	s_add_u32 s16, s16, 1
	global_load_ubyte v2, v3, s[26:27]
	s_addc_u32 s17, s17, 0
	s_waitcnt vmcnt(0)
	v_and_b32_e32 v2, 0xffff, v2
	v_lshlrev_b64 v[18:19], s4, v[2:3]
	s_add_u32 s4, s4, 8
	s_addc_u32 s5, s5, 0
	s_cmp_lg_u32 s19, s16
	v_or_b32_e32 v16, v18, v16
	v_or_b32_e32 v17, v19, v17
	s_cbranch_scc1 .LBB6_2555
.LBB6_2556:                             ;   in Loop: Header=BB6_2524 Depth=1
	s_mov_b64 s[4:5], s[14:15]
	s_mov_b32 s18, 0
	s_cbranch_execz .LBB6_2558
	s_branch .LBB6_2559
.LBB6_2557:                             ;   in Loop: Header=BB6_2524 Depth=1
	s_mov_b32 s18, 0
.LBB6_2558:                             ;   in Loop: Header=BB6_2524 Depth=1
	global_load_dwordx2 v[16:17], v3, s[14:15]
	s_add_i32 s18, s19, -8
.LBB6_2559:                             ;   in Loop: Header=BB6_2524 Depth=1
	s_add_u32 s14, s4, 8
	s_addc_u32 s15, s5, 0
	s_cmp_gt_u32 s18, 7
	s_cbranch_scc1 .LBB6_2564
; %bb.2560:                             ;   in Loop: Header=BB6_2524 Depth=1
	v_mov_b32_e32 v18, 0
	v_mov_b32_e32 v19, 0
	s_cmp_eq_u32 s18, 0
	s_cbranch_scc1 .LBB6_2563
; %bb.2561:                             ;   in Loop: Header=BB6_2524 Depth=1
	s_mov_b64 s[14:15], 0
	s_mov_b64 s[16:17], 0
.LBB6_2562:                             ;   Parent Loop BB6_2524 Depth=1
                                        ; =>  This Inner Loop Header: Depth=2
	s_add_u32 s26, s4, s16
	s_addc_u32 s27, s5, s17
	s_add_u32 s16, s16, 1
	global_load_ubyte v2, v3, s[26:27]
	s_addc_u32 s17, s17, 0
	s_waitcnt vmcnt(0)
	v_and_b32_e32 v2, 0xffff, v2
	v_lshlrev_b64 v[20:21], s14, v[2:3]
	s_add_u32 s14, s14, 8
	s_addc_u32 s15, s15, 0
	s_cmp_lg_u32 s18, s16
	v_or_b32_e32 v18, v20, v18
	v_or_b32_e32 v19, v21, v19
	s_cbranch_scc1 .LBB6_2562
.LBB6_2563:                             ;   in Loop: Header=BB6_2524 Depth=1
	s_mov_b64 s[14:15], s[4:5]
	s_mov_b32 s19, 0
	s_cbranch_execz .LBB6_2565
	s_branch .LBB6_2566
.LBB6_2564:                             ;   in Loop: Header=BB6_2524 Depth=1
                                        ; implicit-def: $vgpr18_vgpr19
	s_mov_b32 s19, 0
.LBB6_2565:                             ;   in Loop: Header=BB6_2524 Depth=1
	global_load_dwordx2 v[18:19], v3, s[4:5]
	s_add_i32 s19, s18, -8
.LBB6_2566:                             ;   in Loop: Header=BB6_2524 Depth=1
	s_cmp_gt_u32 s19, 7
	s_cbranch_scc1 .LBB6_2571
; %bb.2567:                             ;   in Loop: Header=BB6_2524 Depth=1
	v_mov_b32_e32 v20, 0
	v_mov_b32_e32 v21, 0
	s_cmp_eq_u32 s19, 0
	s_cbranch_scc1 .LBB6_2570
; %bb.2568:                             ;   in Loop: Header=BB6_2524 Depth=1
	s_mov_b64 s[4:5], 0
	s_mov_b64 s[16:17], s[14:15]
.LBB6_2569:                             ;   Parent Loop BB6_2524 Depth=1
                                        ; =>  This Inner Loop Header: Depth=2
	global_load_ubyte v2, v3, s[16:17]
	s_add_i32 s19, s19, -1
	s_waitcnt vmcnt(0)
	v_and_b32_e32 v2, 0xffff, v2
	v_lshlrev_b64 v[22:23], s4, v[2:3]
	s_add_u32 s4, s4, 8
	s_addc_u32 s5, s5, 0
	s_add_u32 s16, s16, 1
	s_addc_u32 s17, s17, 0
	s_cmp_lg_u32 s19, 0
	v_or_b32_e32 v20, v22, v20
	v_or_b32_e32 v21, v23, v21
	s_cbranch_scc1 .LBB6_2569
.LBB6_2570:                             ;   in Loop: Header=BB6_2524 Depth=1
	s_cbranch_execz .LBB6_2572
	s_branch .LBB6_2573
.LBB6_2571:                             ;   in Loop: Header=BB6_2524 Depth=1
.LBB6_2572:                             ;   in Loop: Header=BB6_2524 Depth=1
	global_load_dwordx2 v[20:21], v3, s[14:15]
.LBB6_2573:                             ;   in Loop: Header=BB6_2524 Depth=1
	v_readfirstlane_b32 s4, v29
	v_mov_b32_e32 v26, 0
	v_mov_b32_e32 v27, 0
	v_cmp_eq_u32_e64 s4, s4, v29
	s_and_saveexec_b32 s5, s4
	s_cbranch_execz .LBB6_2579
; %bb.2574:                             ;   in Loop: Header=BB6_2524 Depth=1
	global_load_dwordx2 v[24:25], v3, s[6:7] offset:24 glc dlc
	s_waitcnt vmcnt(0)
	buffer_gl1_inv
	buffer_gl0_inv
	s_clause 0x1
	global_load_dwordx2 v[22:23], v3, s[6:7] offset:40
	global_load_dwordx2 v[26:27], v3, s[6:7]
	s_mov_b32 s14, exec_lo
	s_waitcnt vmcnt(1)
	v_and_b32_e32 v2, v23, v25
	v_and_b32_e32 v22, v22, v24
	v_mul_lo_u32 v2, v2, 24
	v_mul_hi_u32 v23, v22, 24
	v_mul_lo_u32 v22, v22, 24
	v_add_nc_u32_e32 v2, v23, v2
	s_waitcnt vmcnt(0)
	v_add_co_u32 v22, vcc_lo, v26, v22
	v_add_co_ci_u32_e64 v23, null, v27, v2, vcc_lo
	global_load_dwordx2 v[22:23], v[22:23], off glc dlc
	s_waitcnt vmcnt(0)
	global_atomic_cmpswap_x2 v[26:27], v3, v[22:25], s[6:7] offset:24 glc
	s_waitcnt vmcnt(0)
	buffer_gl1_inv
	buffer_gl0_inv
	v_cmpx_ne_u64_e64 v[26:27], v[24:25]
	s_cbranch_execz .LBB6_2578
; %bb.2575:                             ;   in Loop: Header=BB6_2524 Depth=1
	s_mov_b32 s15, 0
	.p2align	6
.LBB6_2576:                             ;   Parent Loop BB6_2524 Depth=1
                                        ; =>  This Inner Loop Header: Depth=2
	s_sleep 1
	s_clause 0x1
	global_load_dwordx2 v[22:23], v3, s[6:7] offset:40
	global_load_dwordx2 v[30:31], v3, s[6:7]
	v_mov_b32_e32 v24, v26
	v_mov_b32_e32 v25, v27
	s_waitcnt vmcnt(1)
	v_and_b32_e32 v2, v22, v24
	v_and_b32_e32 v22, v23, v25
	s_waitcnt vmcnt(0)
	v_mad_u64_u32 v[26:27], null, v2, 24, v[30:31]
	v_mov_b32_e32 v2, v27
	v_mad_u64_u32 v[22:23], null, v22, 24, v[2:3]
	v_mov_b32_e32 v27, v22
	global_load_dwordx2 v[22:23], v[26:27], off glc dlc
	s_waitcnt vmcnt(0)
	global_atomic_cmpswap_x2 v[26:27], v3, v[22:25], s[6:7] offset:24 glc
	s_waitcnt vmcnt(0)
	buffer_gl1_inv
	buffer_gl0_inv
	v_cmp_eq_u64_e32 vcc_lo, v[26:27], v[24:25]
	s_or_b32 s15, vcc_lo, s15
	s_andn2_b32 exec_lo, exec_lo, s15
	s_cbranch_execnz .LBB6_2576
; %bb.2577:                             ;   in Loop: Header=BB6_2524 Depth=1
	s_or_b32 exec_lo, exec_lo, s15
.LBB6_2578:                             ;   in Loop: Header=BB6_2524 Depth=1
	s_or_b32 exec_lo, exec_lo, s14
.LBB6_2579:                             ;   in Loop: Header=BB6_2524 Depth=1
	s_or_b32 exec_lo, exec_lo, s5
	s_clause 0x1
	global_load_dwordx2 v[30:31], v3, s[6:7] offset:40
	global_load_dwordx4 v[22:25], v3, s[6:7]
	v_readfirstlane_b32 s15, v27
	v_readfirstlane_b32 s14, v26
	s_mov_b32 s5, exec_lo
	s_waitcnt vmcnt(1)
	v_readfirstlane_b32 s16, v30
	v_readfirstlane_b32 s17, v31
	s_and_b64 s[16:17], s[16:17], s[14:15]
	s_mul_i32 s18, s17, 24
	s_mul_hi_u32 s19, s16, 24
	s_mul_i32 s20, s16, 24
	s_add_i32 s19, s19, s18
	s_waitcnt vmcnt(0)
	v_add_co_u32 v26, vcc_lo, v22, s20
	v_add_co_ci_u32_e64 v27, null, s19, v23, vcc_lo
	s_and_saveexec_b32 s18, s4
	s_cbranch_execz .LBB6_2581
; %bb.2580:                             ;   in Loop: Header=BB6_2524 Depth=1
	v_mov_b32_e32 v2, s5
	global_store_dwordx4 v[26:27], v[2:5], off offset:8
.LBB6_2581:                             ;   in Loop: Header=BB6_2524 Depth=1
	s_or_b32 exec_lo, exec_lo, s18
	v_cmp_gt_u64_e64 s5, s[10:11], 56
	s_lshl_b64 s[16:17], s[16:17], 12
	v_and_b32_e32 v2, 0xffffff1f, v6
	v_add_co_u32 v24, vcc_lo, v24, s16
	v_add_co_ci_u32_e64 v25, null, s17, v25, vcc_lo
	s_and_b32 s5, s5, exec_lo
	s_cselect_b32 s5, 0, 2
	s_lshl_b32 s18, s12, 2
	v_or_b32_e32 v2, s5, v2
	v_readfirstlane_b32 s16, v24
	v_readfirstlane_b32 s17, v25
	s_add_i32 s18, s18, 28
	v_and_or_b32 v6, 0x1e0, s18, v2
	global_store_dwordx4 v28, v[10:13], s[16:17] offset:16
	global_store_dwordx4 v28, v[14:17], s[16:17] offset:32
	global_store_dwordx4 v28, v[6:9], s[16:17]
	global_store_dwordx4 v28, v[18:21], s[16:17] offset:48
	s_and_saveexec_b32 s5, s4
	s_cbranch_execz .LBB6_2589
; %bb.2582:                             ;   in Loop: Header=BB6_2524 Depth=1
	s_clause 0x1
	global_load_dwordx2 v[14:15], v3, s[6:7] offset:32 glc dlc
	global_load_dwordx2 v[6:7], v3, s[6:7] offset:40
	v_mov_b32_e32 v12, s14
	v_mov_b32_e32 v13, s15
	s_waitcnt vmcnt(0)
	v_readfirstlane_b32 s16, v6
	v_readfirstlane_b32 s17, v7
	s_and_b64 s[16:17], s[16:17], s[14:15]
	s_mul_i32 s17, s17, 24
	s_mul_hi_u32 s18, s16, 24
	s_mul_i32 s16, s16, 24
	s_add_i32 s18, s18, s17
	v_add_co_u32 v10, vcc_lo, v22, s16
	v_add_co_ci_u32_e64 v11, null, s18, v23, vcc_lo
	s_mov_b32 s16, exec_lo
	global_store_dwordx2 v[10:11], v[14:15], off
	s_waitcnt_vscnt null, 0x0
	global_atomic_cmpswap_x2 v[8:9], v3, v[12:15], s[6:7] offset:32 glc
	s_waitcnt vmcnt(0)
	v_cmpx_ne_u64_e64 v[8:9], v[14:15]
	s_cbranch_execz .LBB6_2585
; %bb.2583:                             ;   in Loop: Header=BB6_2524 Depth=1
	s_mov_b32 s17, 0
.LBB6_2584:                             ;   Parent Loop BB6_2524 Depth=1
                                        ; =>  This Inner Loop Header: Depth=2
	v_mov_b32_e32 v6, s14
	v_mov_b32_e32 v7, s15
	s_sleep 1
	global_store_dwordx2 v[10:11], v[8:9], off
	s_waitcnt_vscnt null, 0x0
	global_atomic_cmpswap_x2 v[6:7], v3, v[6:9], s[6:7] offset:32 glc
	s_waitcnt vmcnt(0)
	v_cmp_eq_u64_e32 vcc_lo, v[6:7], v[8:9]
	v_mov_b32_e32 v9, v7
	v_mov_b32_e32 v8, v6
	s_or_b32 s17, vcc_lo, s17
	s_andn2_b32 exec_lo, exec_lo, s17
	s_cbranch_execnz .LBB6_2584
.LBB6_2585:                             ;   in Loop: Header=BB6_2524 Depth=1
	s_or_b32 exec_lo, exec_lo, s16
	global_load_dwordx2 v[6:7], v3, s[6:7] offset:16
	s_mov_b32 s17, exec_lo
	s_mov_b32 s16, exec_lo
	v_mbcnt_lo_u32_b32 v2, s17, 0
	v_cmpx_eq_u32_e32 0, v2
	s_cbranch_execz .LBB6_2587
; %bb.2586:                             ;   in Loop: Header=BB6_2524 Depth=1
	s_bcnt1_i32_b32 s17, s17
	v_mov_b32_e32 v2, s17
	s_waitcnt vmcnt(0)
	global_atomic_add_x2 v[6:7], v[2:3], off offset:8
.LBB6_2587:                             ;   in Loop: Header=BB6_2524 Depth=1
	s_or_b32 exec_lo, exec_lo, s16
	s_waitcnt vmcnt(0)
	global_load_dwordx2 v[8:9], v[6:7], off offset:16
	s_waitcnt vmcnt(0)
	v_cmp_eq_u64_e32 vcc_lo, 0, v[8:9]
	s_cbranch_vccnz .LBB6_2589
; %bb.2588:                             ;   in Loop: Header=BB6_2524 Depth=1
	global_load_dword v2, v[6:7], off offset:24
	s_waitcnt vmcnt(0)
	v_readfirstlane_b32 s16, v2
	s_waitcnt_vscnt null, 0x0
	global_store_dwordx2 v[8:9], v[2:3], off
	s_and_b32 m0, s16, 0x7fffff
	s_sendmsg sendmsg(MSG_INTERRUPT)
.LBB6_2589:                             ;   in Loop: Header=BB6_2524 Depth=1
	s_or_b32 exec_lo, exec_lo, s5
	v_add_co_u32 v6, vcc_lo, v24, v28
	v_add_co_ci_u32_e64 v7, null, 0, v25, vcc_lo
	s_branch .LBB6_2593
	.p2align	6
.LBB6_2590:                             ;   in Loop: Header=BB6_2593 Depth=2
	s_or_b32 exec_lo, exec_lo, s5
	v_readfirstlane_b32 s5, v2
	s_cmp_eq_u32 s5, 0
	s_cbranch_scc1 .LBB6_2592
; %bb.2591:                             ;   in Loop: Header=BB6_2593 Depth=2
	s_sleep 1
	s_cbranch_execnz .LBB6_2593
	s_branch .LBB6_2595
	.p2align	6
.LBB6_2592:                             ;   in Loop: Header=BB6_2524 Depth=1
	s_branch .LBB6_2595
.LBB6_2593:                             ;   Parent Loop BB6_2524 Depth=1
                                        ; =>  This Inner Loop Header: Depth=2
	v_mov_b32_e32 v2, 1
	s_and_saveexec_b32 s5, s4
	s_cbranch_execz .LBB6_2590
; %bb.2594:                             ;   in Loop: Header=BB6_2593 Depth=2
	global_load_dword v2, v[26:27], off offset:20 glc dlc
	s_waitcnt vmcnt(0)
	buffer_gl1_inv
	buffer_gl0_inv
	v_and_b32_e32 v2, 1, v2
	s_branch .LBB6_2590
.LBB6_2595:                             ;   in Loop: Header=BB6_2524 Depth=1
	global_load_dwordx4 v[6:9], v[6:7], off
	s_and_saveexec_b32 s16, s4
	s_cbranch_execz .LBB6_2523
; %bb.2596:                             ;   in Loop: Header=BB6_2524 Depth=1
	s_clause 0x2
	global_load_dwordx2 v[8:9], v3, s[6:7] offset:40
	global_load_dwordx2 v[16:17], v3, s[6:7] offset:24 glc dlc
	global_load_dwordx2 v[10:11], v3, s[6:7]
	s_waitcnt vmcnt(2)
	v_readfirstlane_b32 s18, v8
	v_readfirstlane_b32 s19, v9
	s_add_u32 s17, s18, 1
	s_addc_u32 s20, s19, 0
	s_add_u32 s4, s17, s14
	s_addc_u32 s5, s20, s15
	s_cmp_eq_u64 s[4:5], 0
	s_cselect_b32 s5, s20, s5
	s_cselect_b32 s4, s17, s4
	v_mov_b32_e32 v15, s5
	s_and_b64 s[14:15], s[4:5], s[18:19]
	v_mov_b32_e32 v14, s4
	s_mul_i32 s15, s15, 24
	s_mul_hi_u32 s17, s14, 24
	s_mul_i32 s14, s14, 24
	s_add_i32 s17, s17, s15
	s_waitcnt vmcnt(0)
	v_add_co_u32 v12, vcc_lo, v10, s14
	v_add_co_ci_u32_e64 v13, null, s17, v11, vcc_lo
	global_store_dwordx2 v[12:13], v[16:17], off
	s_waitcnt_vscnt null, 0x0
	global_atomic_cmpswap_x2 v[10:11], v3, v[14:17], s[6:7] offset:24 glc
	s_waitcnt vmcnt(0)
	v_cmp_ne_u64_e32 vcc_lo, v[10:11], v[16:17]
	s_and_b32 exec_lo, exec_lo, vcc_lo
	s_cbranch_execz .LBB6_2523
; %bb.2597:                             ;   in Loop: Header=BB6_2524 Depth=1
	s_mov_b32 s14, 0
.LBB6_2598:                             ;   Parent Loop BB6_2524 Depth=1
                                        ; =>  This Inner Loop Header: Depth=2
	v_mov_b32_e32 v8, s4
	v_mov_b32_e32 v9, s5
	s_sleep 1
	global_store_dwordx2 v[12:13], v[10:11], off
	s_waitcnt_vscnt null, 0x0
	global_atomic_cmpswap_x2 v[8:9], v3, v[8:11], s[6:7] offset:24 glc
	s_waitcnt vmcnt(0)
	v_cmp_eq_u64_e32 vcc_lo, v[8:9], v[10:11]
	v_mov_b32_e32 v11, v9
	v_mov_b32_e32 v10, v8
	s_or_b32 s14, vcc_lo, s14
	s_andn2_b32 exec_lo, exec_lo, s14
	s_cbranch_execnz .LBB6_2598
	s_branch .LBB6_2523
.LBB6_2599:
	s_mov_b32 s4, 0
	s_branch .LBB6_2601
.LBB6_2600:
	s_mov_b32 s4, -1
.LBB6_2601:
	s_and_b32 vcc_lo, exec_lo, s4
	s_cbranch_vccz .LBB6_2629
; %bb.2602:
	v_readfirstlane_b32 s4, v29
	s_waitcnt vmcnt(0)
	v_mov_b32_e32 v8, 0
	v_mov_b32_e32 v9, 0
	v_cmp_eq_u32_e64 s4, s4, v29
	s_and_saveexec_b32 s5, s4
	s_cbranch_execz .LBB6_2608
; %bb.2603:
	v_mov_b32_e32 v2, 0
	s_mov_b32 s8, exec_lo
	global_load_dwordx2 v[5:6], v2, s[6:7] offset:24 glc dlc
	s_waitcnt vmcnt(0)
	buffer_gl1_inv
	buffer_gl0_inv
	s_clause 0x1
	global_load_dwordx2 v[3:4], v2, s[6:7] offset:40
	global_load_dwordx2 v[7:8], v2, s[6:7]
	s_waitcnt vmcnt(1)
	v_and_b32_e32 v4, v4, v6
	v_and_b32_e32 v3, v3, v5
	v_mul_lo_u32 v4, v4, 24
	v_mul_hi_u32 v9, v3, 24
	v_mul_lo_u32 v3, v3, 24
	v_add_nc_u32_e32 v4, v9, v4
	s_waitcnt vmcnt(0)
	v_add_co_u32 v3, vcc_lo, v7, v3
	v_add_co_ci_u32_e64 v4, null, v8, v4, vcc_lo
	global_load_dwordx2 v[3:4], v[3:4], off glc dlc
	s_waitcnt vmcnt(0)
	global_atomic_cmpswap_x2 v[8:9], v2, v[3:6], s[6:7] offset:24 glc
	s_waitcnt vmcnt(0)
	buffer_gl1_inv
	buffer_gl0_inv
	v_cmpx_ne_u64_e64 v[8:9], v[5:6]
	s_cbranch_execz .LBB6_2607
; %bb.2604:
	s_mov_b32 s9, 0
.LBB6_2605:                             ; =>This Inner Loop Header: Depth=1
	s_sleep 1
	s_clause 0x1
	global_load_dwordx2 v[3:4], v2, s[6:7] offset:40
	global_load_dwordx2 v[10:11], v2, s[6:7]
	v_mov_b32_e32 v5, v8
	v_mov_b32_e32 v6, v9
	s_waitcnt vmcnt(1)
	v_and_b32_e32 v3, v3, v5
	v_and_b32_e32 v4, v4, v6
	s_waitcnt vmcnt(0)
	v_mad_u64_u32 v[7:8], null, v3, 24, v[10:11]
	v_mov_b32_e32 v3, v8
	v_mad_u64_u32 v[3:4], null, v4, 24, v[3:4]
	v_mov_b32_e32 v8, v3
	global_load_dwordx2 v[3:4], v[7:8], off glc dlc
	s_waitcnt vmcnt(0)
	global_atomic_cmpswap_x2 v[8:9], v2, v[3:6], s[6:7] offset:24 glc
	s_waitcnt vmcnt(0)
	buffer_gl1_inv
	buffer_gl0_inv
	v_cmp_eq_u64_e32 vcc_lo, v[8:9], v[5:6]
	s_or_b32 s9, vcc_lo, s9
	s_andn2_b32 exec_lo, exec_lo, s9
	s_cbranch_execnz .LBB6_2605
; %bb.2606:
	s_or_b32 exec_lo, exec_lo, s9
.LBB6_2607:
	s_or_b32 exec_lo, exec_lo, s8
.LBB6_2608:
	s_or_b32 exec_lo, exec_lo, s5
	v_mov_b32_e32 v2, 0
	v_readfirstlane_b32 s9, v9
	v_readfirstlane_b32 s8, v8
	s_mov_b32 s5, exec_lo
	s_clause 0x1
	global_load_dwordx2 v[10:11], v2, s[6:7] offset:40
	global_load_dwordx4 v[4:7], v2, s[6:7]
	s_waitcnt vmcnt(1)
	v_readfirstlane_b32 s10, v10
	v_readfirstlane_b32 s11, v11
	s_and_b64 s[10:11], s[10:11], s[8:9]
	s_mul_i32 s12, s11, 24
	s_mul_hi_u32 s13, s10, 24
	s_mul_i32 s14, s10, 24
	s_add_i32 s13, s13, s12
	s_waitcnt vmcnt(0)
	v_add_co_u32 v8, vcc_lo, v4, s14
	v_add_co_ci_u32_e64 v9, null, s13, v5, vcc_lo
	s_and_saveexec_b32 s12, s4
	s_cbranch_execz .LBB6_2610
; %bb.2609:
	v_mov_b32_e32 v10, s5
	v_mov_b32_e32 v11, v2
	;; [unrolled: 1-line block ×4, first 2 shown]
	global_store_dwordx4 v[8:9], v[10:13], off offset:8
.LBB6_2610:
	s_or_b32 exec_lo, exec_lo, s12
	s_lshl_b64 s[10:11], s[10:11], 12
	s_mov_b32 s12, 0
	v_add_co_u32 v6, vcc_lo, v6, s10
	v_add_co_ci_u32_e64 v7, null, s11, v7, vcc_lo
	s_mov_b32 s13, s12
	s_mov_b32 s14, s12
	;; [unrolled: 1-line block ×3, first 2 shown]
	v_and_or_b32 v0, 0xffffff1d, v0, 34
	v_mov_b32_e32 v3, v2
	v_readfirstlane_b32 s10, v6
	v_readfirstlane_b32 s11, v7
	v_mov_b32_e32 v10, s12
	v_mov_b32_e32 v11, s13
	;; [unrolled: 1-line block ×4, first 2 shown]
	global_store_dwordx4 v28, v[0:3], s[10:11]
	global_store_dwordx4 v28, v[10:13], s[10:11] offset:16
	global_store_dwordx4 v28, v[10:13], s[10:11] offset:32
	;; [unrolled: 1-line block ×3, first 2 shown]
	s_and_saveexec_b32 s5, s4
	s_cbranch_execz .LBB6_2618
; %bb.2611:
	v_mov_b32_e32 v6, 0
	v_mov_b32_e32 v10, s8
	;; [unrolled: 1-line block ×3, first 2 shown]
	s_clause 0x1
	global_load_dwordx2 v[12:13], v6, s[6:7] offset:32 glc dlc
	global_load_dwordx2 v[0:1], v6, s[6:7] offset:40
	s_waitcnt vmcnt(0)
	v_readfirstlane_b32 s10, v0
	v_readfirstlane_b32 s11, v1
	s_and_b64 s[10:11], s[10:11], s[8:9]
	s_mul_i32 s11, s11, 24
	s_mul_hi_u32 s12, s10, 24
	s_mul_i32 s10, s10, 24
	s_add_i32 s12, s12, s11
	v_add_co_u32 v4, vcc_lo, v4, s10
	v_add_co_ci_u32_e64 v5, null, s12, v5, vcc_lo
	s_mov_b32 s10, exec_lo
	global_store_dwordx2 v[4:5], v[12:13], off
	s_waitcnt_vscnt null, 0x0
	global_atomic_cmpswap_x2 v[2:3], v6, v[10:13], s[6:7] offset:32 glc
	s_waitcnt vmcnt(0)
	v_cmpx_ne_u64_e64 v[2:3], v[12:13]
	s_cbranch_execz .LBB6_2614
; %bb.2612:
	s_mov_b32 s11, 0
.LBB6_2613:                             ; =>This Inner Loop Header: Depth=1
	v_mov_b32_e32 v0, s8
	v_mov_b32_e32 v1, s9
	s_sleep 1
	global_store_dwordx2 v[4:5], v[2:3], off
	s_waitcnt_vscnt null, 0x0
	global_atomic_cmpswap_x2 v[0:1], v6, v[0:3], s[6:7] offset:32 glc
	s_waitcnt vmcnt(0)
	v_cmp_eq_u64_e32 vcc_lo, v[0:1], v[2:3]
	v_mov_b32_e32 v3, v1
	v_mov_b32_e32 v2, v0
	s_or_b32 s11, vcc_lo, s11
	s_andn2_b32 exec_lo, exec_lo, s11
	s_cbranch_execnz .LBB6_2613
.LBB6_2614:
	s_or_b32 exec_lo, exec_lo, s10
	v_mov_b32_e32 v3, 0
	s_mov_b32 s11, exec_lo
	s_mov_b32 s10, exec_lo
	v_mbcnt_lo_u32_b32 v2, s11, 0
	global_load_dwordx2 v[0:1], v3, s[6:7] offset:16
	v_cmpx_eq_u32_e32 0, v2
	s_cbranch_execz .LBB6_2616
; %bb.2615:
	s_bcnt1_i32_b32 s11, s11
	v_mov_b32_e32 v2, s11
	s_waitcnt vmcnt(0)
	global_atomic_add_x2 v[0:1], v[2:3], off offset:8
.LBB6_2616:
	s_or_b32 exec_lo, exec_lo, s10
	s_waitcnt vmcnt(0)
	global_load_dwordx2 v[2:3], v[0:1], off offset:16
	s_waitcnt vmcnt(0)
	v_cmp_eq_u64_e32 vcc_lo, 0, v[2:3]
	s_cbranch_vccnz .LBB6_2618
; %bb.2617:
	global_load_dword v0, v[0:1], off offset:24
	v_mov_b32_e32 v1, 0
	s_waitcnt vmcnt(0)
	v_readfirstlane_b32 s10, v0
	s_waitcnt_vscnt null, 0x0
	global_store_dwordx2 v[2:3], v[0:1], off
	s_and_b32 m0, s10, 0x7fffff
	s_sendmsg sendmsg(MSG_INTERRUPT)
.LBB6_2618:
	s_or_b32 exec_lo, exec_lo, s5
	s_branch .LBB6_2622
	.p2align	6
.LBB6_2619:                             ;   in Loop: Header=BB6_2622 Depth=1
	s_or_b32 exec_lo, exec_lo, s5
	v_readfirstlane_b32 s5, v0
	s_cmp_eq_u32 s5, 0
	s_cbranch_scc1 .LBB6_2621
; %bb.2620:                             ;   in Loop: Header=BB6_2622 Depth=1
	s_sleep 1
	s_cbranch_execnz .LBB6_2622
	s_branch .LBB6_2624
.LBB6_2621:
	s_branch .LBB6_2624
.LBB6_2622:                             ; =>This Inner Loop Header: Depth=1
	v_mov_b32_e32 v0, 1
	s_and_saveexec_b32 s5, s4
	s_cbranch_execz .LBB6_2619
; %bb.2623:                             ;   in Loop: Header=BB6_2622 Depth=1
	global_load_dword v0, v[8:9], off offset:20 glc dlc
	s_waitcnt vmcnt(0)
	buffer_gl1_inv
	buffer_gl0_inv
	v_and_b32_e32 v0, 1, v0
	s_branch .LBB6_2619
.LBB6_2624:
	s_and_saveexec_b32 s10, s4
	s_cbranch_execz .LBB6_2628
; %bb.2625:
	v_mov_b32_e32 v6, 0
	s_clause 0x2
	global_load_dwordx2 v[0:1], v6, s[6:7] offset:40
	global_load_dwordx2 v[9:10], v6, s[6:7] offset:24 glc dlc
	global_load_dwordx2 v[2:3], v6, s[6:7]
	s_waitcnt vmcnt(2)
	v_readfirstlane_b32 s12, v0
	v_readfirstlane_b32 s13, v1
	s_add_u32 s11, s12, 1
	s_addc_u32 s14, s13, 0
	s_add_u32 s4, s11, s8
	s_addc_u32 s5, s14, s9
	s_cmp_eq_u64 s[4:5], 0
	s_cselect_b32 s5, s14, s5
	s_cselect_b32 s4, s11, s4
	v_mov_b32_e32 v8, s5
	s_and_b64 s[8:9], s[4:5], s[12:13]
	v_mov_b32_e32 v7, s4
	s_mul_i32 s9, s9, 24
	s_mul_hi_u32 s11, s8, 24
	s_mul_i32 s8, s8, 24
	s_add_i32 s11, s11, s9
	s_waitcnt vmcnt(0)
	v_add_co_u32 v4, vcc_lo, v2, s8
	v_add_co_ci_u32_e64 v5, null, s11, v3, vcc_lo
	global_store_dwordx2 v[4:5], v[9:10], off
	s_waitcnt_vscnt null, 0x0
	global_atomic_cmpswap_x2 v[2:3], v6, v[7:10], s[6:7] offset:24 glc
	s_waitcnt vmcnt(0)
	v_cmp_ne_u64_e32 vcc_lo, v[2:3], v[9:10]
	s_and_b32 exec_lo, exec_lo, vcc_lo
	s_cbranch_execz .LBB6_2628
; %bb.2626:
	s_mov_b32 s8, 0
.LBB6_2627:                             ; =>This Inner Loop Header: Depth=1
	v_mov_b32_e32 v0, s4
	v_mov_b32_e32 v1, s5
	s_sleep 1
	global_store_dwordx2 v[4:5], v[2:3], off
	s_waitcnt_vscnt null, 0x0
	global_atomic_cmpswap_x2 v[0:1], v6, v[0:3], s[6:7] offset:24 glc
	s_waitcnt vmcnt(0)
	v_cmp_eq_u64_e32 vcc_lo, v[0:1], v[2:3]
	v_mov_b32_e32 v3, v1
	v_mov_b32_e32 v2, v0
	s_or_b32 s8, vcc_lo, s8
	s_andn2_b32 exec_lo, exec_lo, s8
	s_cbranch_execnz .LBB6_2627
.LBB6_2628:
	s_or_b32 exec_lo, exec_lo, s10
.LBB6_2629:
	s_getpc_b64 s[4:5]
	s_add_u32 s4, s4, .str.29@rel32@lo+4
	s_addc_u32 s5, s5, .str.29@rel32@hi+12
	s_getpc_b64 s[6:7]
	s_add_u32 s6, s6, .str.19@rel32@lo+4
	s_addc_u32 s7, s7, .str.19@rel32@hi+12
	s_getpc_b64 s[8:9]
	s_add_u32 s8, s8, __PRETTY_FUNCTION__._ZN7VecsMemIjLi8192EE5fetchEi@rel32@lo+4
	s_addc_u32 s9, s9, __PRETTY_FUNCTION__._ZN7VecsMemIjLi8192EE5fetchEi@rel32@hi+12
	s_waitcnt vmcnt(0)
	v_mov_b32_e32 v0, s4
	v_mov_b32_e32 v1, s5
	;; [unrolled: 1-line block ×7, first 2 shown]
	s_getpc_b64 s[10:11]
	s_add_u32 s10, s10, __assert_fail@rel32@lo+4
	s_addc_u32 s11, s11, __assert_fail@rel32@hi+12
	s_mov_b64 s[8:9], s[52:53]
	s_swappc_b64 s[30:31], s[10:11]
	s_or_b32 s22, s22, exec_lo
.LBB6_2630:
	s_or_b32 exec_lo, exec_lo, s21
	s_and_saveexec_b32 s4, s29
	s_xor_b32 s21, exec_lo, s4
	s_cbranch_execz .LBB6_2766
; %bb.2631:
	s_load_dwordx2 s[6:7], s[52:53], 0x50
	v_mbcnt_lo_u32_b32 v29, -1, 0
	v_mov_b32_e32 v6, 0
	v_mov_b32_e32 v7, 0
	v_readfirstlane_b32 s4, v29
	v_cmp_eq_u32_e64 s4, s4, v29
	s_and_saveexec_b32 s5, s4
	s_cbranch_execz .LBB6_2637
; %bb.2632:
	v_mov_b32_e32 v0, 0
	s_mov_b32 s8, exec_lo
	s_waitcnt lgkmcnt(0)
	global_load_dwordx2 v[3:4], v0, s[6:7] offset:24 glc dlc
	s_waitcnt vmcnt(0)
	buffer_gl1_inv
	buffer_gl0_inv
	s_clause 0x1
	global_load_dwordx2 v[1:2], v0, s[6:7] offset:40
	global_load_dwordx2 v[5:6], v0, s[6:7]
	s_waitcnt vmcnt(1)
	v_and_b32_e32 v2, v2, v4
	v_and_b32_e32 v1, v1, v3
	v_mul_lo_u32 v2, v2, 24
	v_mul_hi_u32 v7, v1, 24
	v_mul_lo_u32 v1, v1, 24
	v_add_nc_u32_e32 v2, v7, v2
	s_waitcnt vmcnt(0)
	v_add_co_u32 v1, vcc_lo, v5, v1
	v_add_co_ci_u32_e64 v2, null, v6, v2, vcc_lo
	global_load_dwordx2 v[1:2], v[1:2], off glc dlc
	s_waitcnt vmcnt(0)
	global_atomic_cmpswap_x2 v[6:7], v0, v[1:4], s[6:7] offset:24 glc
	s_waitcnt vmcnt(0)
	buffer_gl1_inv
	buffer_gl0_inv
	v_cmpx_ne_u64_e64 v[6:7], v[3:4]
	s_cbranch_execz .LBB6_2636
; %bb.2633:
	s_mov_b32 s9, 0
	.p2align	6
.LBB6_2634:                             ; =>This Inner Loop Header: Depth=1
	s_sleep 1
	s_clause 0x1
	global_load_dwordx2 v[1:2], v0, s[6:7] offset:40
	global_load_dwordx2 v[8:9], v0, s[6:7]
	v_mov_b32_e32 v3, v6
	v_mov_b32_e32 v4, v7
	s_waitcnt vmcnt(1)
	v_and_b32_e32 v1, v1, v3
	v_and_b32_e32 v2, v2, v4
	s_waitcnt vmcnt(0)
	v_mad_u64_u32 v[5:6], null, v1, 24, v[8:9]
	v_mov_b32_e32 v1, v6
	v_mad_u64_u32 v[1:2], null, v2, 24, v[1:2]
	v_mov_b32_e32 v6, v1
	global_load_dwordx2 v[1:2], v[5:6], off glc dlc
	s_waitcnt vmcnt(0)
	global_atomic_cmpswap_x2 v[6:7], v0, v[1:4], s[6:7] offset:24 glc
	s_waitcnt vmcnt(0)
	buffer_gl1_inv
	buffer_gl0_inv
	v_cmp_eq_u64_e32 vcc_lo, v[6:7], v[3:4]
	s_or_b32 s9, vcc_lo, s9
	s_andn2_b32 exec_lo, exec_lo, s9
	s_cbranch_execnz .LBB6_2634
; %bb.2635:
	s_or_b32 exec_lo, exec_lo, s9
.LBB6_2636:
	s_or_b32 exec_lo, exec_lo, s8
.LBB6_2637:
	s_or_b32 exec_lo, exec_lo, s5
	v_mov_b32_e32 v5, 0
	v_readfirstlane_b32 s9, v7
	v_readfirstlane_b32 s8, v6
	s_mov_b32 s5, exec_lo
	s_waitcnt lgkmcnt(0)
	s_clause 0x1
	global_load_dwordx2 v[8:9], v5, s[6:7] offset:40
	global_load_dwordx4 v[0:3], v5, s[6:7]
	s_waitcnt vmcnt(1)
	v_readfirstlane_b32 s10, v8
	v_readfirstlane_b32 s11, v9
	s_and_b64 s[10:11], s[10:11], s[8:9]
	s_mul_i32 s12, s11, 24
	s_mul_hi_u32 s13, s10, 24
	s_mul_i32 s14, s10, 24
	s_add_i32 s13, s13, s12
	s_waitcnt vmcnt(0)
	v_add_co_u32 v8, vcc_lo, v0, s14
	v_add_co_ci_u32_e64 v9, null, s13, v1, vcc_lo
	s_and_saveexec_b32 s12, s4
	s_cbranch_execz .LBB6_2639
; %bb.2638:
	v_mov_b32_e32 v4, s5
	v_mov_b32_e32 v6, 2
	;; [unrolled: 1-line block ×3, first 2 shown]
	global_store_dwordx4 v[8:9], v[4:7], off offset:8
.LBB6_2639:
	s_or_b32 exec_lo, exec_lo, s12
	s_lshl_b64 s[10:11], s[10:11], 12
	v_lshlrev_b32_e32 v28, 6, v29
	v_add_co_u32 v2, vcc_lo, v2, s10
	v_add_co_ci_u32_e64 v3, null, s11, v3, vcc_lo
	s_mov_b32 s12, 0
	v_add_co_u32 v10, vcc_lo, v2, v28
	s_mov_b32 s13, s12
	s_mov_b32 s14, s12
	;; [unrolled: 1-line block ×3, first 2 shown]
	v_mov_b32_e32 v4, 33
	v_mov_b32_e32 v6, v5
	;; [unrolled: 1-line block ×3, first 2 shown]
	v_readfirstlane_b32 s10, v2
	v_readfirstlane_b32 s11, v3
	v_mov_b32_e32 v12, s12
	v_add_co_ci_u32_e64 v11, null, 0, v3, vcc_lo
	v_mov_b32_e32 v13, s13
	v_mov_b32_e32 v14, s14
	;; [unrolled: 1-line block ×3, first 2 shown]
	global_store_dwordx4 v28, v[4:7], s[10:11]
	global_store_dwordx4 v28, v[12:15], s[10:11] offset:16
	global_store_dwordx4 v28, v[12:15], s[10:11] offset:32
	;; [unrolled: 1-line block ×3, first 2 shown]
	s_and_saveexec_b32 s5, s4
	s_cbranch_execz .LBB6_2647
; %bb.2640:
	v_mov_b32_e32 v6, 0
	v_mov_b32_e32 v12, s8
	;; [unrolled: 1-line block ×3, first 2 shown]
	s_mov_b32 s10, exec_lo
	s_clause 0x1
	global_load_dwordx2 v[14:15], v6, s[6:7] offset:32 glc dlc
	global_load_dwordx2 v[2:3], v6, s[6:7] offset:40
	s_waitcnt vmcnt(0)
	v_and_b32_e32 v3, s9, v3
	v_and_b32_e32 v2, s8, v2
	v_mul_lo_u32 v3, v3, 24
	v_mul_hi_u32 v4, v2, 24
	v_mul_lo_u32 v2, v2, 24
	v_add_nc_u32_e32 v3, v4, v3
	v_add_co_u32 v4, vcc_lo, v0, v2
	v_add_co_ci_u32_e64 v5, null, v1, v3, vcc_lo
	global_store_dwordx2 v[4:5], v[14:15], off
	s_waitcnt_vscnt null, 0x0
	global_atomic_cmpswap_x2 v[2:3], v6, v[12:15], s[6:7] offset:32 glc
	s_waitcnt vmcnt(0)
	v_cmpx_ne_u64_e64 v[2:3], v[14:15]
	s_cbranch_execz .LBB6_2643
; %bb.2641:
	s_mov_b32 s11, 0
.LBB6_2642:                             ; =>This Inner Loop Header: Depth=1
	v_mov_b32_e32 v0, s8
	v_mov_b32_e32 v1, s9
	s_sleep 1
	global_store_dwordx2 v[4:5], v[2:3], off
	s_waitcnt_vscnt null, 0x0
	global_atomic_cmpswap_x2 v[0:1], v6, v[0:3], s[6:7] offset:32 glc
	s_waitcnt vmcnt(0)
	v_cmp_eq_u64_e32 vcc_lo, v[0:1], v[2:3]
	v_mov_b32_e32 v3, v1
	v_mov_b32_e32 v2, v0
	s_or_b32 s11, vcc_lo, s11
	s_andn2_b32 exec_lo, exec_lo, s11
	s_cbranch_execnz .LBB6_2642
.LBB6_2643:
	s_or_b32 exec_lo, exec_lo, s10
	v_mov_b32_e32 v3, 0
	s_mov_b32 s11, exec_lo
	s_mov_b32 s10, exec_lo
	v_mbcnt_lo_u32_b32 v2, s11, 0
	global_load_dwordx2 v[0:1], v3, s[6:7] offset:16
	v_cmpx_eq_u32_e32 0, v2
	s_cbranch_execz .LBB6_2645
; %bb.2644:
	s_bcnt1_i32_b32 s11, s11
	v_mov_b32_e32 v2, s11
	s_waitcnt vmcnt(0)
	global_atomic_add_x2 v[0:1], v[2:3], off offset:8
.LBB6_2645:
	s_or_b32 exec_lo, exec_lo, s10
	s_waitcnt vmcnt(0)
	global_load_dwordx2 v[2:3], v[0:1], off offset:16
	s_waitcnt vmcnt(0)
	v_cmp_eq_u64_e32 vcc_lo, 0, v[2:3]
	s_cbranch_vccnz .LBB6_2647
; %bb.2646:
	global_load_dword v0, v[0:1], off offset:24
	v_mov_b32_e32 v1, 0
	s_waitcnt vmcnt(0)
	v_readfirstlane_b32 s10, v0
	s_waitcnt_vscnt null, 0x0
	global_store_dwordx2 v[2:3], v[0:1], off
	s_and_b32 m0, s10, 0x7fffff
	s_sendmsg sendmsg(MSG_INTERRUPT)
.LBB6_2647:
	s_or_b32 exec_lo, exec_lo, s5
	s_branch .LBB6_2651
	.p2align	6
.LBB6_2648:                             ;   in Loop: Header=BB6_2651 Depth=1
	s_or_b32 exec_lo, exec_lo, s5
	v_readfirstlane_b32 s5, v0
	s_cmp_eq_u32 s5, 0
	s_cbranch_scc1 .LBB6_2650
; %bb.2649:                             ;   in Loop: Header=BB6_2651 Depth=1
	s_sleep 1
	s_cbranch_execnz .LBB6_2651
	s_branch .LBB6_2653
	.p2align	6
.LBB6_2650:
	s_branch .LBB6_2653
.LBB6_2651:                             ; =>This Inner Loop Header: Depth=1
	v_mov_b32_e32 v0, 1
	s_and_saveexec_b32 s5, s4
	s_cbranch_execz .LBB6_2648
; %bb.2652:                             ;   in Loop: Header=BB6_2651 Depth=1
	global_load_dword v0, v[8:9], off offset:20 glc dlc
	s_waitcnt vmcnt(0)
	buffer_gl1_inv
	buffer_gl0_inv
	v_and_b32_e32 v0, 1, v0
	s_branch .LBB6_2648
.LBB6_2653:
	global_load_dwordx2 v[0:1], v[10:11], off
	s_and_saveexec_b32 s10, s4
	s_cbranch_execz .LBB6_2657
; %bb.2654:
	v_mov_b32_e32 v8, 0
	s_clause 0x2
	global_load_dwordx2 v[2:3], v8, s[6:7] offset:40
	global_load_dwordx2 v[11:12], v8, s[6:7] offset:24 glc dlc
	global_load_dwordx2 v[4:5], v8, s[6:7]
	s_waitcnt vmcnt(2)
	v_readfirstlane_b32 s12, v2
	v_readfirstlane_b32 s13, v3
	s_add_u32 s11, s12, 1
	s_addc_u32 s14, s13, 0
	s_add_u32 s4, s11, s8
	s_addc_u32 s5, s14, s9
	s_cmp_eq_u64 s[4:5], 0
	s_cselect_b32 s5, s14, s5
	s_cselect_b32 s4, s11, s4
	v_mov_b32_e32 v10, s5
	s_and_b64 s[8:9], s[4:5], s[12:13]
	v_mov_b32_e32 v9, s4
	s_mul_i32 s9, s9, 24
	s_mul_hi_u32 s11, s8, 24
	s_mul_i32 s8, s8, 24
	s_add_i32 s11, s11, s9
	s_waitcnt vmcnt(0)
	v_add_co_u32 v6, vcc_lo, v4, s8
	v_add_co_ci_u32_e64 v7, null, s11, v5, vcc_lo
	global_store_dwordx2 v[6:7], v[11:12], off
	s_waitcnt_vscnt null, 0x0
	global_atomic_cmpswap_x2 v[4:5], v8, v[9:12], s[6:7] offset:24 glc
	s_waitcnt vmcnt(0)
	v_cmp_ne_u64_e32 vcc_lo, v[4:5], v[11:12]
	s_and_b32 exec_lo, exec_lo, vcc_lo
	s_cbranch_execz .LBB6_2657
; %bb.2655:
	s_mov_b32 s8, 0
.LBB6_2656:                             ; =>This Inner Loop Header: Depth=1
	v_mov_b32_e32 v2, s4
	v_mov_b32_e32 v3, s5
	s_sleep 1
	global_store_dwordx2 v[6:7], v[4:5], off
	s_waitcnt_vscnt null, 0x0
	global_atomic_cmpswap_x2 v[2:3], v8, v[2:5], s[6:7] offset:24 glc
	s_waitcnt vmcnt(0)
	v_cmp_eq_u64_e32 vcc_lo, v[2:3], v[4:5]
	v_mov_b32_e32 v5, v3
	v_mov_b32_e32 v4, v2
	s_or_b32 s8, vcc_lo, s8
	s_andn2_b32 exec_lo, exec_lo, s8
	s_cbranch_execnz .LBB6_2656
.LBB6_2657:
	s_or_b32 exec_lo, exec_lo, s10
	s_getpc_b64 s[8:9]
	s_add_u32 s8, s8, .str.28@rel32@lo+4
	s_addc_u32 s9, s9, .str.28@rel32@hi+12
	s_cmp_lg_u64 s[8:9], 0
	s_cbranch_scc0 .LBB6_2736
; %bb.2658:
	s_waitcnt vmcnt(0)
	v_and_b32_e32 v6, -3, v0
	v_mov_b32_e32 v7, v1
	v_mov_b32_e32 v3, 0
	v_mov_b32_e32 v4, 2
	v_mov_b32_e32 v5, 1
	s_mov_b64 s[10:11], 35
	s_branch .LBB6_2660
.LBB6_2659:                             ;   in Loop: Header=BB6_2660 Depth=1
	s_or_b32 exec_lo, exec_lo, s16
	s_sub_u32 s10, s10, s12
	s_subb_u32 s11, s11, s13
	s_add_u32 s8, s8, s12
	s_addc_u32 s9, s9, s13
	s_cmp_lg_u64 s[10:11], 0
	s_cbranch_scc0 .LBB6_2735
.LBB6_2660:                             ; =>This Loop Header: Depth=1
                                        ;     Child Loop BB6_2663 Depth 2
                                        ;     Child Loop BB6_2670 Depth 2
	;; [unrolled: 1-line block ×11, first 2 shown]
	v_cmp_lt_u64_e64 s4, s[10:11], 56
	v_cmp_gt_u64_e64 s14, s[10:11], 7
	s_and_b32 s4, s4, exec_lo
	s_cselect_b32 s13, s11, 0
	s_cselect_b32 s12, s10, 56
	s_add_u32 s4, s8, 8
	s_addc_u32 s5, s9, 0
	s_and_b32 vcc_lo, exec_lo, s14
	s_cbranch_vccnz .LBB6_2665
; %bb.2661:                             ;   in Loop: Header=BB6_2660 Depth=1
	s_waitcnt vmcnt(0)
	v_mov_b32_e32 v8, 0
	v_mov_b32_e32 v9, 0
	s_cmp_eq_u64 s[10:11], 0
	s_cbranch_scc1 .LBB6_2664
; %bb.2662:                             ;   in Loop: Header=BB6_2660 Depth=1
	s_lshl_b64 s[4:5], s[12:13], 3
	s_mov_b64 s[14:15], 0
	s_mov_b64 s[16:17], s[8:9]
.LBB6_2663:                             ;   Parent Loop BB6_2660 Depth=1
                                        ; =>  This Inner Loop Header: Depth=2
	global_load_ubyte v2, v3, s[16:17]
	s_waitcnt vmcnt(0)
	v_and_b32_e32 v2, 0xffff, v2
	v_lshlrev_b64 v[10:11], s14, v[2:3]
	s_add_u32 s14, s14, 8
	s_addc_u32 s15, s15, 0
	s_add_u32 s16, s16, 1
	s_addc_u32 s17, s17, 0
	s_cmp_lg_u32 s4, s14
	v_or_b32_e32 v8, v10, v8
	v_or_b32_e32 v9, v11, v9
	s_cbranch_scc1 .LBB6_2663
.LBB6_2664:                             ;   in Loop: Header=BB6_2660 Depth=1
	s_mov_b64 s[4:5], s[8:9]
	s_mov_b32 s18, 0
	s_cbranch_execz .LBB6_2666
	s_branch .LBB6_2667
.LBB6_2665:                             ;   in Loop: Header=BB6_2660 Depth=1
	s_mov_b32 s18, 0
.LBB6_2666:                             ;   in Loop: Header=BB6_2660 Depth=1
	global_load_dwordx2 v[8:9], v3, s[8:9]
	s_add_i32 s18, s12, -8
.LBB6_2667:                             ;   in Loop: Header=BB6_2660 Depth=1
	s_add_u32 s14, s4, 8
	s_addc_u32 s15, s5, 0
	s_cmp_gt_u32 s18, 7
	s_cbranch_scc1 .LBB6_2672
; %bb.2668:                             ;   in Loop: Header=BB6_2660 Depth=1
	v_mov_b32_e32 v10, 0
	v_mov_b32_e32 v11, 0
	s_cmp_eq_u32 s18, 0
	s_cbranch_scc1 .LBB6_2671
; %bb.2669:                             ;   in Loop: Header=BB6_2660 Depth=1
	s_mov_b64 s[14:15], 0
	s_mov_b64 s[16:17], 0
.LBB6_2670:                             ;   Parent Loop BB6_2660 Depth=1
                                        ; =>  This Inner Loop Header: Depth=2
	s_add_u32 s26, s4, s16
	s_addc_u32 s27, s5, s17
	s_add_u32 s16, s16, 1
	global_load_ubyte v2, v3, s[26:27]
	s_addc_u32 s17, s17, 0
	s_waitcnt vmcnt(0)
	v_and_b32_e32 v2, 0xffff, v2
	v_lshlrev_b64 v[12:13], s14, v[2:3]
	s_add_u32 s14, s14, 8
	s_addc_u32 s15, s15, 0
	s_cmp_lg_u32 s18, s16
	v_or_b32_e32 v10, v12, v10
	v_or_b32_e32 v11, v13, v11
	s_cbranch_scc1 .LBB6_2670
.LBB6_2671:                             ;   in Loop: Header=BB6_2660 Depth=1
	s_mov_b64 s[14:15], s[4:5]
	s_mov_b32 s19, 0
	s_cbranch_execz .LBB6_2673
	s_branch .LBB6_2674
.LBB6_2672:                             ;   in Loop: Header=BB6_2660 Depth=1
                                        ; implicit-def: $vgpr10_vgpr11
	s_mov_b32 s19, 0
.LBB6_2673:                             ;   in Loop: Header=BB6_2660 Depth=1
	global_load_dwordx2 v[10:11], v3, s[4:5]
	s_add_i32 s19, s18, -8
.LBB6_2674:                             ;   in Loop: Header=BB6_2660 Depth=1
	s_add_u32 s4, s14, 8
	s_addc_u32 s5, s15, 0
	s_cmp_gt_u32 s19, 7
	s_cbranch_scc1 .LBB6_2679
; %bb.2675:                             ;   in Loop: Header=BB6_2660 Depth=1
	v_mov_b32_e32 v12, 0
	v_mov_b32_e32 v13, 0
	s_cmp_eq_u32 s19, 0
	s_cbranch_scc1 .LBB6_2678
; %bb.2676:                             ;   in Loop: Header=BB6_2660 Depth=1
	s_mov_b64 s[4:5], 0
	s_mov_b64 s[16:17], 0
.LBB6_2677:                             ;   Parent Loop BB6_2660 Depth=1
                                        ; =>  This Inner Loop Header: Depth=2
	s_add_u32 s26, s14, s16
	s_addc_u32 s27, s15, s17
	s_add_u32 s16, s16, 1
	global_load_ubyte v2, v3, s[26:27]
	s_addc_u32 s17, s17, 0
	s_waitcnt vmcnt(0)
	v_and_b32_e32 v2, 0xffff, v2
	v_lshlrev_b64 v[14:15], s4, v[2:3]
	s_add_u32 s4, s4, 8
	s_addc_u32 s5, s5, 0
	s_cmp_lg_u32 s19, s16
	v_or_b32_e32 v12, v14, v12
	v_or_b32_e32 v13, v15, v13
	s_cbranch_scc1 .LBB6_2677
.LBB6_2678:                             ;   in Loop: Header=BB6_2660 Depth=1
	s_mov_b64 s[4:5], s[14:15]
	s_mov_b32 s18, 0
	s_cbranch_execz .LBB6_2680
	s_branch .LBB6_2681
.LBB6_2679:                             ;   in Loop: Header=BB6_2660 Depth=1
	s_mov_b32 s18, 0
.LBB6_2680:                             ;   in Loop: Header=BB6_2660 Depth=1
	global_load_dwordx2 v[12:13], v3, s[14:15]
	s_add_i32 s18, s19, -8
.LBB6_2681:                             ;   in Loop: Header=BB6_2660 Depth=1
	s_add_u32 s14, s4, 8
	s_addc_u32 s15, s5, 0
	s_cmp_gt_u32 s18, 7
	s_cbranch_scc1 .LBB6_2686
; %bb.2682:                             ;   in Loop: Header=BB6_2660 Depth=1
	v_mov_b32_e32 v14, 0
	v_mov_b32_e32 v15, 0
	s_cmp_eq_u32 s18, 0
	s_cbranch_scc1 .LBB6_2685
; %bb.2683:                             ;   in Loop: Header=BB6_2660 Depth=1
	s_mov_b64 s[14:15], 0
	s_mov_b64 s[16:17], 0
.LBB6_2684:                             ;   Parent Loop BB6_2660 Depth=1
                                        ; =>  This Inner Loop Header: Depth=2
	s_add_u32 s26, s4, s16
	s_addc_u32 s27, s5, s17
	s_add_u32 s16, s16, 1
	global_load_ubyte v2, v3, s[26:27]
	s_addc_u32 s17, s17, 0
	s_waitcnt vmcnt(0)
	v_and_b32_e32 v2, 0xffff, v2
	v_lshlrev_b64 v[16:17], s14, v[2:3]
	s_add_u32 s14, s14, 8
	s_addc_u32 s15, s15, 0
	s_cmp_lg_u32 s18, s16
	v_or_b32_e32 v14, v16, v14
	v_or_b32_e32 v15, v17, v15
	s_cbranch_scc1 .LBB6_2684
.LBB6_2685:                             ;   in Loop: Header=BB6_2660 Depth=1
	s_mov_b64 s[14:15], s[4:5]
	s_mov_b32 s19, 0
	s_cbranch_execz .LBB6_2687
	s_branch .LBB6_2688
.LBB6_2686:                             ;   in Loop: Header=BB6_2660 Depth=1
                                        ; implicit-def: $vgpr14_vgpr15
	s_mov_b32 s19, 0
.LBB6_2687:                             ;   in Loop: Header=BB6_2660 Depth=1
	global_load_dwordx2 v[14:15], v3, s[4:5]
	s_add_i32 s19, s18, -8
.LBB6_2688:                             ;   in Loop: Header=BB6_2660 Depth=1
	s_add_u32 s4, s14, 8
	s_addc_u32 s5, s15, 0
	s_cmp_gt_u32 s19, 7
	s_cbranch_scc1 .LBB6_2693
; %bb.2689:                             ;   in Loop: Header=BB6_2660 Depth=1
	v_mov_b32_e32 v16, 0
	v_mov_b32_e32 v17, 0
	s_cmp_eq_u32 s19, 0
	s_cbranch_scc1 .LBB6_2692
; %bb.2690:                             ;   in Loop: Header=BB6_2660 Depth=1
	s_mov_b64 s[4:5], 0
	s_mov_b64 s[16:17], 0
.LBB6_2691:                             ;   Parent Loop BB6_2660 Depth=1
                                        ; =>  This Inner Loop Header: Depth=2
	s_add_u32 s26, s14, s16
	s_addc_u32 s27, s15, s17
	s_add_u32 s16, s16, 1
	global_load_ubyte v2, v3, s[26:27]
	s_addc_u32 s17, s17, 0
	s_waitcnt vmcnt(0)
	v_and_b32_e32 v2, 0xffff, v2
	v_lshlrev_b64 v[18:19], s4, v[2:3]
	s_add_u32 s4, s4, 8
	s_addc_u32 s5, s5, 0
	s_cmp_lg_u32 s19, s16
	v_or_b32_e32 v16, v18, v16
	v_or_b32_e32 v17, v19, v17
	s_cbranch_scc1 .LBB6_2691
.LBB6_2692:                             ;   in Loop: Header=BB6_2660 Depth=1
	s_mov_b64 s[4:5], s[14:15]
	s_mov_b32 s18, 0
	s_cbranch_execz .LBB6_2694
	s_branch .LBB6_2695
.LBB6_2693:                             ;   in Loop: Header=BB6_2660 Depth=1
	s_mov_b32 s18, 0
.LBB6_2694:                             ;   in Loop: Header=BB6_2660 Depth=1
	global_load_dwordx2 v[16:17], v3, s[14:15]
	s_add_i32 s18, s19, -8
.LBB6_2695:                             ;   in Loop: Header=BB6_2660 Depth=1
	s_add_u32 s14, s4, 8
	s_addc_u32 s15, s5, 0
	s_cmp_gt_u32 s18, 7
	s_cbranch_scc1 .LBB6_2700
; %bb.2696:                             ;   in Loop: Header=BB6_2660 Depth=1
	v_mov_b32_e32 v18, 0
	v_mov_b32_e32 v19, 0
	s_cmp_eq_u32 s18, 0
	s_cbranch_scc1 .LBB6_2699
; %bb.2697:                             ;   in Loop: Header=BB6_2660 Depth=1
	s_mov_b64 s[14:15], 0
	s_mov_b64 s[16:17], 0
.LBB6_2698:                             ;   Parent Loop BB6_2660 Depth=1
                                        ; =>  This Inner Loop Header: Depth=2
	s_add_u32 s26, s4, s16
	s_addc_u32 s27, s5, s17
	s_add_u32 s16, s16, 1
	global_load_ubyte v2, v3, s[26:27]
	s_addc_u32 s17, s17, 0
	s_waitcnt vmcnt(0)
	v_and_b32_e32 v2, 0xffff, v2
	v_lshlrev_b64 v[20:21], s14, v[2:3]
	s_add_u32 s14, s14, 8
	s_addc_u32 s15, s15, 0
	s_cmp_lg_u32 s18, s16
	v_or_b32_e32 v18, v20, v18
	v_or_b32_e32 v19, v21, v19
	s_cbranch_scc1 .LBB6_2698
.LBB6_2699:                             ;   in Loop: Header=BB6_2660 Depth=1
	s_mov_b64 s[14:15], s[4:5]
	s_mov_b32 s19, 0
	s_cbranch_execz .LBB6_2701
	s_branch .LBB6_2702
.LBB6_2700:                             ;   in Loop: Header=BB6_2660 Depth=1
                                        ; implicit-def: $vgpr18_vgpr19
	s_mov_b32 s19, 0
.LBB6_2701:                             ;   in Loop: Header=BB6_2660 Depth=1
	global_load_dwordx2 v[18:19], v3, s[4:5]
	s_add_i32 s19, s18, -8
.LBB6_2702:                             ;   in Loop: Header=BB6_2660 Depth=1
	s_cmp_gt_u32 s19, 7
	s_cbranch_scc1 .LBB6_2707
; %bb.2703:                             ;   in Loop: Header=BB6_2660 Depth=1
	v_mov_b32_e32 v20, 0
	v_mov_b32_e32 v21, 0
	s_cmp_eq_u32 s19, 0
	s_cbranch_scc1 .LBB6_2706
; %bb.2704:                             ;   in Loop: Header=BB6_2660 Depth=1
	s_mov_b64 s[4:5], 0
	s_mov_b64 s[16:17], s[14:15]
.LBB6_2705:                             ;   Parent Loop BB6_2660 Depth=1
                                        ; =>  This Inner Loop Header: Depth=2
	global_load_ubyte v2, v3, s[16:17]
	s_add_i32 s19, s19, -1
	s_waitcnt vmcnt(0)
	v_and_b32_e32 v2, 0xffff, v2
	v_lshlrev_b64 v[22:23], s4, v[2:3]
	s_add_u32 s4, s4, 8
	s_addc_u32 s5, s5, 0
	s_add_u32 s16, s16, 1
	s_addc_u32 s17, s17, 0
	s_cmp_lg_u32 s19, 0
	v_or_b32_e32 v20, v22, v20
	v_or_b32_e32 v21, v23, v21
	s_cbranch_scc1 .LBB6_2705
.LBB6_2706:                             ;   in Loop: Header=BB6_2660 Depth=1
	s_cbranch_execz .LBB6_2708
	s_branch .LBB6_2709
.LBB6_2707:                             ;   in Loop: Header=BB6_2660 Depth=1
.LBB6_2708:                             ;   in Loop: Header=BB6_2660 Depth=1
	global_load_dwordx2 v[20:21], v3, s[14:15]
.LBB6_2709:                             ;   in Loop: Header=BB6_2660 Depth=1
	v_readfirstlane_b32 s4, v29
	v_mov_b32_e32 v26, 0
	v_mov_b32_e32 v27, 0
	v_cmp_eq_u32_e64 s4, s4, v29
	s_and_saveexec_b32 s5, s4
	s_cbranch_execz .LBB6_2715
; %bb.2710:                             ;   in Loop: Header=BB6_2660 Depth=1
	global_load_dwordx2 v[24:25], v3, s[6:7] offset:24 glc dlc
	s_waitcnt vmcnt(0)
	buffer_gl1_inv
	buffer_gl0_inv
	s_clause 0x1
	global_load_dwordx2 v[22:23], v3, s[6:7] offset:40
	global_load_dwordx2 v[26:27], v3, s[6:7]
	s_mov_b32 s14, exec_lo
	s_waitcnt vmcnt(1)
	v_and_b32_e32 v2, v23, v25
	v_and_b32_e32 v22, v22, v24
	v_mul_lo_u32 v2, v2, 24
	v_mul_hi_u32 v23, v22, 24
	v_mul_lo_u32 v22, v22, 24
	v_add_nc_u32_e32 v2, v23, v2
	s_waitcnt vmcnt(0)
	v_add_co_u32 v22, vcc_lo, v26, v22
	v_add_co_ci_u32_e64 v23, null, v27, v2, vcc_lo
	global_load_dwordx2 v[22:23], v[22:23], off glc dlc
	s_waitcnt vmcnt(0)
	global_atomic_cmpswap_x2 v[26:27], v3, v[22:25], s[6:7] offset:24 glc
	s_waitcnt vmcnt(0)
	buffer_gl1_inv
	buffer_gl0_inv
	v_cmpx_ne_u64_e64 v[26:27], v[24:25]
	s_cbranch_execz .LBB6_2714
; %bb.2711:                             ;   in Loop: Header=BB6_2660 Depth=1
	s_mov_b32 s15, 0
	.p2align	6
.LBB6_2712:                             ;   Parent Loop BB6_2660 Depth=1
                                        ; =>  This Inner Loop Header: Depth=2
	s_sleep 1
	s_clause 0x1
	global_load_dwordx2 v[22:23], v3, s[6:7] offset:40
	global_load_dwordx2 v[30:31], v3, s[6:7]
	v_mov_b32_e32 v24, v26
	v_mov_b32_e32 v25, v27
	s_waitcnt vmcnt(1)
	v_and_b32_e32 v2, v22, v24
	v_and_b32_e32 v22, v23, v25
	s_waitcnt vmcnt(0)
	v_mad_u64_u32 v[26:27], null, v2, 24, v[30:31]
	v_mov_b32_e32 v2, v27
	v_mad_u64_u32 v[22:23], null, v22, 24, v[2:3]
	v_mov_b32_e32 v27, v22
	global_load_dwordx2 v[22:23], v[26:27], off glc dlc
	s_waitcnt vmcnt(0)
	global_atomic_cmpswap_x2 v[26:27], v3, v[22:25], s[6:7] offset:24 glc
	s_waitcnt vmcnt(0)
	buffer_gl1_inv
	buffer_gl0_inv
	v_cmp_eq_u64_e32 vcc_lo, v[26:27], v[24:25]
	s_or_b32 s15, vcc_lo, s15
	s_andn2_b32 exec_lo, exec_lo, s15
	s_cbranch_execnz .LBB6_2712
; %bb.2713:                             ;   in Loop: Header=BB6_2660 Depth=1
	s_or_b32 exec_lo, exec_lo, s15
.LBB6_2714:                             ;   in Loop: Header=BB6_2660 Depth=1
	s_or_b32 exec_lo, exec_lo, s14
.LBB6_2715:                             ;   in Loop: Header=BB6_2660 Depth=1
	s_or_b32 exec_lo, exec_lo, s5
	s_clause 0x1
	global_load_dwordx2 v[30:31], v3, s[6:7] offset:40
	global_load_dwordx4 v[22:25], v3, s[6:7]
	v_readfirstlane_b32 s15, v27
	v_readfirstlane_b32 s14, v26
	s_mov_b32 s5, exec_lo
	s_waitcnt vmcnt(1)
	v_readfirstlane_b32 s16, v30
	v_readfirstlane_b32 s17, v31
	s_and_b64 s[16:17], s[16:17], s[14:15]
	s_mul_i32 s18, s17, 24
	s_mul_hi_u32 s19, s16, 24
	s_mul_i32 s20, s16, 24
	s_add_i32 s19, s19, s18
	s_waitcnt vmcnt(0)
	v_add_co_u32 v26, vcc_lo, v22, s20
	v_add_co_ci_u32_e64 v27, null, s19, v23, vcc_lo
	s_and_saveexec_b32 s18, s4
	s_cbranch_execz .LBB6_2717
; %bb.2716:                             ;   in Loop: Header=BB6_2660 Depth=1
	v_mov_b32_e32 v2, s5
	global_store_dwordx4 v[26:27], v[2:5], off offset:8
.LBB6_2717:                             ;   in Loop: Header=BB6_2660 Depth=1
	s_or_b32 exec_lo, exec_lo, s18
	v_cmp_gt_u64_e64 s5, s[10:11], 56
	s_lshl_b64 s[16:17], s[16:17], 12
	v_and_b32_e32 v2, 0xffffff1f, v6
	v_add_co_u32 v24, vcc_lo, v24, s16
	v_add_co_ci_u32_e64 v25, null, s17, v25, vcc_lo
	s_and_b32 s5, s5, exec_lo
	s_cselect_b32 s5, 0, 2
	s_lshl_b32 s18, s12, 2
	v_or_b32_e32 v2, s5, v2
	v_readfirstlane_b32 s16, v24
	v_readfirstlane_b32 s17, v25
	s_add_i32 s18, s18, 28
	v_and_or_b32 v6, 0x1e0, s18, v2
	global_store_dwordx4 v28, v[10:13], s[16:17] offset:16
	global_store_dwordx4 v28, v[14:17], s[16:17] offset:32
	global_store_dwordx4 v28, v[6:9], s[16:17]
	global_store_dwordx4 v28, v[18:21], s[16:17] offset:48
	s_and_saveexec_b32 s5, s4
	s_cbranch_execz .LBB6_2725
; %bb.2718:                             ;   in Loop: Header=BB6_2660 Depth=1
	s_clause 0x1
	global_load_dwordx2 v[14:15], v3, s[6:7] offset:32 glc dlc
	global_load_dwordx2 v[6:7], v3, s[6:7] offset:40
	v_mov_b32_e32 v12, s14
	v_mov_b32_e32 v13, s15
	s_waitcnt vmcnt(0)
	v_readfirstlane_b32 s16, v6
	v_readfirstlane_b32 s17, v7
	s_and_b64 s[16:17], s[16:17], s[14:15]
	s_mul_i32 s17, s17, 24
	s_mul_hi_u32 s18, s16, 24
	s_mul_i32 s16, s16, 24
	s_add_i32 s18, s18, s17
	v_add_co_u32 v10, vcc_lo, v22, s16
	v_add_co_ci_u32_e64 v11, null, s18, v23, vcc_lo
	s_mov_b32 s16, exec_lo
	global_store_dwordx2 v[10:11], v[14:15], off
	s_waitcnt_vscnt null, 0x0
	global_atomic_cmpswap_x2 v[8:9], v3, v[12:15], s[6:7] offset:32 glc
	s_waitcnt vmcnt(0)
	v_cmpx_ne_u64_e64 v[8:9], v[14:15]
	s_cbranch_execz .LBB6_2721
; %bb.2719:                             ;   in Loop: Header=BB6_2660 Depth=1
	s_mov_b32 s17, 0
.LBB6_2720:                             ;   Parent Loop BB6_2660 Depth=1
                                        ; =>  This Inner Loop Header: Depth=2
	v_mov_b32_e32 v6, s14
	v_mov_b32_e32 v7, s15
	s_sleep 1
	global_store_dwordx2 v[10:11], v[8:9], off
	s_waitcnt_vscnt null, 0x0
	global_atomic_cmpswap_x2 v[6:7], v3, v[6:9], s[6:7] offset:32 glc
	s_waitcnt vmcnt(0)
	v_cmp_eq_u64_e32 vcc_lo, v[6:7], v[8:9]
	v_mov_b32_e32 v9, v7
	v_mov_b32_e32 v8, v6
	s_or_b32 s17, vcc_lo, s17
	s_andn2_b32 exec_lo, exec_lo, s17
	s_cbranch_execnz .LBB6_2720
.LBB6_2721:                             ;   in Loop: Header=BB6_2660 Depth=1
	s_or_b32 exec_lo, exec_lo, s16
	global_load_dwordx2 v[6:7], v3, s[6:7] offset:16
	s_mov_b32 s17, exec_lo
	s_mov_b32 s16, exec_lo
	v_mbcnt_lo_u32_b32 v2, s17, 0
	v_cmpx_eq_u32_e32 0, v2
	s_cbranch_execz .LBB6_2723
; %bb.2722:                             ;   in Loop: Header=BB6_2660 Depth=1
	s_bcnt1_i32_b32 s17, s17
	v_mov_b32_e32 v2, s17
	s_waitcnt vmcnt(0)
	global_atomic_add_x2 v[6:7], v[2:3], off offset:8
.LBB6_2723:                             ;   in Loop: Header=BB6_2660 Depth=1
	s_or_b32 exec_lo, exec_lo, s16
	s_waitcnt vmcnt(0)
	global_load_dwordx2 v[8:9], v[6:7], off offset:16
	s_waitcnt vmcnt(0)
	v_cmp_eq_u64_e32 vcc_lo, 0, v[8:9]
	s_cbranch_vccnz .LBB6_2725
; %bb.2724:                             ;   in Loop: Header=BB6_2660 Depth=1
	global_load_dword v2, v[6:7], off offset:24
	s_waitcnt vmcnt(0)
	v_readfirstlane_b32 s16, v2
	s_waitcnt_vscnt null, 0x0
	global_store_dwordx2 v[8:9], v[2:3], off
	s_and_b32 m0, s16, 0x7fffff
	s_sendmsg sendmsg(MSG_INTERRUPT)
.LBB6_2725:                             ;   in Loop: Header=BB6_2660 Depth=1
	s_or_b32 exec_lo, exec_lo, s5
	v_add_co_u32 v6, vcc_lo, v24, v28
	v_add_co_ci_u32_e64 v7, null, 0, v25, vcc_lo
	s_branch .LBB6_2729
	.p2align	6
.LBB6_2726:                             ;   in Loop: Header=BB6_2729 Depth=2
	s_or_b32 exec_lo, exec_lo, s5
	v_readfirstlane_b32 s5, v2
	s_cmp_eq_u32 s5, 0
	s_cbranch_scc1 .LBB6_2728
; %bb.2727:                             ;   in Loop: Header=BB6_2729 Depth=2
	s_sleep 1
	s_cbranch_execnz .LBB6_2729
	s_branch .LBB6_2731
	.p2align	6
.LBB6_2728:                             ;   in Loop: Header=BB6_2660 Depth=1
	s_branch .LBB6_2731
.LBB6_2729:                             ;   Parent Loop BB6_2660 Depth=1
                                        ; =>  This Inner Loop Header: Depth=2
	v_mov_b32_e32 v2, 1
	s_and_saveexec_b32 s5, s4
	s_cbranch_execz .LBB6_2726
; %bb.2730:                             ;   in Loop: Header=BB6_2729 Depth=2
	global_load_dword v2, v[26:27], off offset:20 glc dlc
	s_waitcnt vmcnt(0)
	buffer_gl1_inv
	buffer_gl0_inv
	v_and_b32_e32 v2, 1, v2
	s_branch .LBB6_2726
.LBB6_2731:                             ;   in Loop: Header=BB6_2660 Depth=1
	global_load_dwordx4 v[6:9], v[6:7], off
	s_and_saveexec_b32 s16, s4
	s_cbranch_execz .LBB6_2659
; %bb.2732:                             ;   in Loop: Header=BB6_2660 Depth=1
	s_clause 0x2
	global_load_dwordx2 v[8:9], v3, s[6:7] offset:40
	global_load_dwordx2 v[16:17], v3, s[6:7] offset:24 glc dlc
	global_load_dwordx2 v[10:11], v3, s[6:7]
	s_waitcnt vmcnt(2)
	v_readfirstlane_b32 s18, v8
	v_readfirstlane_b32 s19, v9
	s_add_u32 s17, s18, 1
	s_addc_u32 s20, s19, 0
	s_add_u32 s4, s17, s14
	s_addc_u32 s5, s20, s15
	s_cmp_eq_u64 s[4:5], 0
	s_cselect_b32 s5, s20, s5
	s_cselect_b32 s4, s17, s4
	v_mov_b32_e32 v15, s5
	s_and_b64 s[14:15], s[4:5], s[18:19]
	v_mov_b32_e32 v14, s4
	s_mul_i32 s15, s15, 24
	s_mul_hi_u32 s17, s14, 24
	s_mul_i32 s14, s14, 24
	s_add_i32 s17, s17, s15
	s_waitcnt vmcnt(0)
	v_add_co_u32 v12, vcc_lo, v10, s14
	v_add_co_ci_u32_e64 v13, null, s17, v11, vcc_lo
	global_store_dwordx2 v[12:13], v[16:17], off
	s_waitcnt_vscnt null, 0x0
	global_atomic_cmpswap_x2 v[10:11], v3, v[14:17], s[6:7] offset:24 glc
	s_waitcnt vmcnt(0)
	v_cmp_ne_u64_e32 vcc_lo, v[10:11], v[16:17]
	s_and_b32 exec_lo, exec_lo, vcc_lo
	s_cbranch_execz .LBB6_2659
; %bb.2733:                             ;   in Loop: Header=BB6_2660 Depth=1
	s_mov_b32 s14, 0
.LBB6_2734:                             ;   Parent Loop BB6_2660 Depth=1
                                        ; =>  This Inner Loop Header: Depth=2
	v_mov_b32_e32 v8, s4
	v_mov_b32_e32 v9, s5
	s_sleep 1
	global_store_dwordx2 v[12:13], v[10:11], off
	s_waitcnt_vscnt null, 0x0
	global_atomic_cmpswap_x2 v[8:9], v3, v[8:11], s[6:7] offset:24 glc
	s_waitcnt vmcnt(0)
	v_cmp_eq_u64_e32 vcc_lo, v[8:9], v[10:11]
	v_mov_b32_e32 v11, v9
	v_mov_b32_e32 v10, v8
	s_or_b32 s14, vcc_lo, s14
	s_andn2_b32 exec_lo, exec_lo, s14
	s_cbranch_execnz .LBB6_2734
	s_branch .LBB6_2659
.LBB6_2735:
	s_mov_b32 s4, 0
	s_branch .LBB6_2737
.LBB6_2736:
	s_mov_b32 s4, -1
.LBB6_2737:
	s_and_b32 vcc_lo, exec_lo, s4
	s_cbranch_vccz .LBB6_2765
; %bb.2738:
	v_readfirstlane_b32 s4, v29
	s_waitcnt vmcnt(0)
	v_mov_b32_e32 v8, 0
	v_mov_b32_e32 v9, 0
	v_cmp_eq_u32_e64 s4, s4, v29
	s_and_saveexec_b32 s5, s4
	s_cbranch_execz .LBB6_2744
; %bb.2739:
	v_mov_b32_e32 v2, 0
	s_mov_b32 s8, exec_lo
	global_load_dwordx2 v[5:6], v2, s[6:7] offset:24 glc dlc
	s_waitcnt vmcnt(0)
	buffer_gl1_inv
	buffer_gl0_inv
	s_clause 0x1
	global_load_dwordx2 v[3:4], v2, s[6:7] offset:40
	global_load_dwordx2 v[7:8], v2, s[6:7]
	s_waitcnt vmcnt(1)
	v_and_b32_e32 v4, v4, v6
	v_and_b32_e32 v3, v3, v5
	v_mul_lo_u32 v4, v4, 24
	v_mul_hi_u32 v9, v3, 24
	v_mul_lo_u32 v3, v3, 24
	v_add_nc_u32_e32 v4, v9, v4
	s_waitcnt vmcnt(0)
	v_add_co_u32 v3, vcc_lo, v7, v3
	v_add_co_ci_u32_e64 v4, null, v8, v4, vcc_lo
	global_load_dwordx2 v[3:4], v[3:4], off glc dlc
	s_waitcnt vmcnt(0)
	global_atomic_cmpswap_x2 v[8:9], v2, v[3:6], s[6:7] offset:24 glc
	s_waitcnt vmcnt(0)
	buffer_gl1_inv
	buffer_gl0_inv
	v_cmpx_ne_u64_e64 v[8:9], v[5:6]
	s_cbranch_execz .LBB6_2743
; %bb.2740:
	s_mov_b32 s9, 0
.LBB6_2741:                             ; =>This Inner Loop Header: Depth=1
	s_sleep 1
	s_clause 0x1
	global_load_dwordx2 v[3:4], v2, s[6:7] offset:40
	global_load_dwordx2 v[10:11], v2, s[6:7]
	v_mov_b32_e32 v5, v8
	v_mov_b32_e32 v6, v9
	s_waitcnt vmcnt(1)
	v_and_b32_e32 v3, v3, v5
	v_and_b32_e32 v4, v4, v6
	s_waitcnt vmcnt(0)
	v_mad_u64_u32 v[7:8], null, v3, 24, v[10:11]
	v_mov_b32_e32 v3, v8
	v_mad_u64_u32 v[3:4], null, v4, 24, v[3:4]
	v_mov_b32_e32 v8, v3
	global_load_dwordx2 v[3:4], v[7:8], off glc dlc
	s_waitcnt vmcnt(0)
	global_atomic_cmpswap_x2 v[8:9], v2, v[3:6], s[6:7] offset:24 glc
	s_waitcnt vmcnt(0)
	buffer_gl1_inv
	buffer_gl0_inv
	v_cmp_eq_u64_e32 vcc_lo, v[8:9], v[5:6]
	s_or_b32 s9, vcc_lo, s9
	s_andn2_b32 exec_lo, exec_lo, s9
	s_cbranch_execnz .LBB6_2741
; %bb.2742:
	s_or_b32 exec_lo, exec_lo, s9
.LBB6_2743:
	s_or_b32 exec_lo, exec_lo, s8
.LBB6_2744:
	s_or_b32 exec_lo, exec_lo, s5
	v_mov_b32_e32 v2, 0
	v_readfirstlane_b32 s9, v9
	v_readfirstlane_b32 s8, v8
	s_mov_b32 s5, exec_lo
	s_clause 0x1
	global_load_dwordx2 v[10:11], v2, s[6:7] offset:40
	global_load_dwordx4 v[4:7], v2, s[6:7]
	s_waitcnt vmcnt(1)
	v_readfirstlane_b32 s10, v10
	v_readfirstlane_b32 s11, v11
	s_and_b64 s[10:11], s[10:11], s[8:9]
	s_mul_i32 s12, s11, 24
	s_mul_hi_u32 s13, s10, 24
	s_mul_i32 s14, s10, 24
	s_add_i32 s13, s13, s12
	s_waitcnt vmcnt(0)
	v_add_co_u32 v8, vcc_lo, v4, s14
	v_add_co_ci_u32_e64 v9, null, s13, v5, vcc_lo
	s_and_saveexec_b32 s12, s4
	s_cbranch_execz .LBB6_2746
; %bb.2745:
	v_mov_b32_e32 v10, s5
	v_mov_b32_e32 v11, v2
	v_mov_b32_e32 v12, 2
	v_mov_b32_e32 v13, 1
	global_store_dwordx4 v[8:9], v[10:13], off offset:8
.LBB6_2746:
	s_or_b32 exec_lo, exec_lo, s12
	s_lshl_b64 s[10:11], s[10:11], 12
	s_mov_b32 s12, 0
	v_add_co_u32 v6, vcc_lo, v6, s10
	v_add_co_ci_u32_e64 v7, null, s11, v7, vcc_lo
	s_mov_b32 s13, s12
	s_mov_b32 s14, s12
	;; [unrolled: 1-line block ×3, first 2 shown]
	v_and_or_b32 v0, 0xffffff1d, v0, 34
	v_mov_b32_e32 v3, v2
	v_readfirstlane_b32 s10, v6
	v_readfirstlane_b32 s11, v7
	v_mov_b32_e32 v10, s12
	v_mov_b32_e32 v11, s13
	;; [unrolled: 1-line block ×4, first 2 shown]
	global_store_dwordx4 v28, v[0:3], s[10:11]
	global_store_dwordx4 v28, v[10:13], s[10:11] offset:16
	global_store_dwordx4 v28, v[10:13], s[10:11] offset:32
	;; [unrolled: 1-line block ×3, first 2 shown]
	s_and_saveexec_b32 s5, s4
	s_cbranch_execz .LBB6_2754
; %bb.2747:
	v_mov_b32_e32 v6, 0
	v_mov_b32_e32 v10, s8
	;; [unrolled: 1-line block ×3, first 2 shown]
	s_clause 0x1
	global_load_dwordx2 v[12:13], v6, s[6:7] offset:32 glc dlc
	global_load_dwordx2 v[0:1], v6, s[6:7] offset:40
	s_waitcnt vmcnt(0)
	v_readfirstlane_b32 s10, v0
	v_readfirstlane_b32 s11, v1
	s_and_b64 s[10:11], s[10:11], s[8:9]
	s_mul_i32 s11, s11, 24
	s_mul_hi_u32 s12, s10, 24
	s_mul_i32 s10, s10, 24
	s_add_i32 s12, s12, s11
	v_add_co_u32 v4, vcc_lo, v4, s10
	v_add_co_ci_u32_e64 v5, null, s12, v5, vcc_lo
	s_mov_b32 s10, exec_lo
	global_store_dwordx2 v[4:5], v[12:13], off
	s_waitcnt_vscnt null, 0x0
	global_atomic_cmpswap_x2 v[2:3], v6, v[10:13], s[6:7] offset:32 glc
	s_waitcnt vmcnt(0)
	v_cmpx_ne_u64_e64 v[2:3], v[12:13]
	s_cbranch_execz .LBB6_2750
; %bb.2748:
	s_mov_b32 s11, 0
.LBB6_2749:                             ; =>This Inner Loop Header: Depth=1
	v_mov_b32_e32 v0, s8
	v_mov_b32_e32 v1, s9
	s_sleep 1
	global_store_dwordx2 v[4:5], v[2:3], off
	s_waitcnt_vscnt null, 0x0
	global_atomic_cmpswap_x2 v[0:1], v6, v[0:3], s[6:7] offset:32 glc
	s_waitcnt vmcnt(0)
	v_cmp_eq_u64_e32 vcc_lo, v[0:1], v[2:3]
	v_mov_b32_e32 v3, v1
	v_mov_b32_e32 v2, v0
	s_or_b32 s11, vcc_lo, s11
	s_andn2_b32 exec_lo, exec_lo, s11
	s_cbranch_execnz .LBB6_2749
.LBB6_2750:
	s_or_b32 exec_lo, exec_lo, s10
	v_mov_b32_e32 v3, 0
	s_mov_b32 s11, exec_lo
	s_mov_b32 s10, exec_lo
	v_mbcnt_lo_u32_b32 v2, s11, 0
	global_load_dwordx2 v[0:1], v3, s[6:7] offset:16
	v_cmpx_eq_u32_e32 0, v2
	s_cbranch_execz .LBB6_2752
; %bb.2751:
	s_bcnt1_i32_b32 s11, s11
	v_mov_b32_e32 v2, s11
	s_waitcnt vmcnt(0)
	global_atomic_add_x2 v[0:1], v[2:3], off offset:8
.LBB6_2752:
	s_or_b32 exec_lo, exec_lo, s10
	s_waitcnt vmcnt(0)
	global_load_dwordx2 v[2:3], v[0:1], off offset:16
	s_waitcnt vmcnt(0)
	v_cmp_eq_u64_e32 vcc_lo, 0, v[2:3]
	s_cbranch_vccnz .LBB6_2754
; %bb.2753:
	global_load_dword v0, v[0:1], off offset:24
	v_mov_b32_e32 v1, 0
	s_waitcnt vmcnt(0)
	v_readfirstlane_b32 s10, v0
	s_waitcnt_vscnt null, 0x0
	global_store_dwordx2 v[2:3], v[0:1], off
	s_and_b32 m0, s10, 0x7fffff
	s_sendmsg sendmsg(MSG_INTERRUPT)
.LBB6_2754:
	s_or_b32 exec_lo, exec_lo, s5
	s_branch .LBB6_2758
	.p2align	6
.LBB6_2755:                             ;   in Loop: Header=BB6_2758 Depth=1
	s_or_b32 exec_lo, exec_lo, s5
	v_readfirstlane_b32 s5, v0
	s_cmp_eq_u32 s5, 0
	s_cbranch_scc1 .LBB6_2757
; %bb.2756:                             ;   in Loop: Header=BB6_2758 Depth=1
	s_sleep 1
	s_cbranch_execnz .LBB6_2758
	s_branch .LBB6_2760
.LBB6_2757:
	s_branch .LBB6_2760
.LBB6_2758:                             ; =>This Inner Loop Header: Depth=1
	v_mov_b32_e32 v0, 1
	s_and_saveexec_b32 s5, s4
	s_cbranch_execz .LBB6_2755
; %bb.2759:                             ;   in Loop: Header=BB6_2758 Depth=1
	global_load_dword v0, v[8:9], off offset:20 glc dlc
	s_waitcnt vmcnt(0)
	buffer_gl1_inv
	buffer_gl0_inv
	v_and_b32_e32 v0, 1, v0
	s_branch .LBB6_2755
.LBB6_2760:
	s_and_saveexec_b32 s10, s4
	s_cbranch_execz .LBB6_2764
; %bb.2761:
	v_mov_b32_e32 v6, 0
	s_clause 0x2
	global_load_dwordx2 v[0:1], v6, s[6:7] offset:40
	global_load_dwordx2 v[9:10], v6, s[6:7] offset:24 glc dlc
	global_load_dwordx2 v[2:3], v6, s[6:7]
	s_waitcnt vmcnt(2)
	v_readfirstlane_b32 s12, v0
	v_readfirstlane_b32 s13, v1
	s_add_u32 s11, s12, 1
	s_addc_u32 s14, s13, 0
	s_add_u32 s4, s11, s8
	s_addc_u32 s5, s14, s9
	s_cmp_eq_u64 s[4:5], 0
	s_cselect_b32 s5, s14, s5
	s_cselect_b32 s4, s11, s4
	v_mov_b32_e32 v8, s5
	s_and_b64 s[8:9], s[4:5], s[12:13]
	v_mov_b32_e32 v7, s4
	s_mul_i32 s9, s9, 24
	s_mul_hi_u32 s11, s8, 24
	s_mul_i32 s8, s8, 24
	s_add_i32 s11, s11, s9
	s_waitcnt vmcnt(0)
	v_add_co_u32 v4, vcc_lo, v2, s8
	v_add_co_ci_u32_e64 v5, null, s11, v3, vcc_lo
	global_store_dwordx2 v[4:5], v[9:10], off
	s_waitcnt_vscnt null, 0x0
	global_atomic_cmpswap_x2 v[2:3], v6, v[7:10], s[6:7] offset:24 glc
	s_waitcnt vmcnt(0)
	v_cmp_ne_u64_e32 vcc_lo, v[2:3], v[9:10]
	s_and_b32 exec_lo, exec_lo, vcc_lo
	s_cbranch_execz .LBB6_2764
; %bb.2762:
	s_mov_b32 s8, 0
.LBB6_2763:                             ; =>This Inner Loop Header: Depth=1
	v_mov_b32_e32 v0, s4
	v_mov_b32_e32 v1, s5
	s_sleep 1
	global_store_dwordx2 v[4:5], v[2:3], off
	s_waitcnt_vscnt null, 0x0
	global_atomic_cmpswap_x2 v[0:1], v6, v[0:3], s[6:7] offset:24 glc
	s_waitcnt vmcnt(0)
	v_cmp_eq_u64_e32 vcc_lo, v[0:1], v[2:3]
	v_mov_b32_e32 v3, v1
	v_mov_b32_e32 v2, v0
	s_or_b32 s8, vcc_lo, s8
	s_andn2_b32 exec_lo, exec_lo, s8
	s_cbranch_execnz .LBB6_2763
.LBB6_2764:
	s_or_b32 exec_lo, exec_lo, s10
.LBB6_2765:
	s_getpc_b64 s[4:5]
	s_add_u32 s4, s4, .str.29@rel32@lo+4
	s_addc_u32 s5, s5, .str.29@rel32@hi+12
	s_getpc_b64 s[6:7]
	s_add_u32 s6, s6, .str.19@rel32@lo+4
	s_addc_u32 s7, s7, .str.19@rel32@hi+12
	s_getpc_b64 s[8:9]
	s_add_u32 s8, s8, __PRETTY_FUNCTION__._ZN7VecsMemIjLi8192EE5fetchEi@rel32@lo+4
	s_addc_u32 s9, s9, __PRETTY_FUNCTION__._ZN7VecsMemIjLi8192EE5fetchEi@rel32@hi+12
	s_waitcnt vmcnt(0)
	v_mov_b32_e32 v0, s4
	v_mov_b32_e32 v1, s5
	v_mov_b32_e32 v2, s6
	v_mov_b32_e32 v3, s7
	v_mov_b32_e32 v4, 12
	v_mov_b32_e32 v5, s8
	v_mov_b32_e32 v6, s9
	s_getpc_b64 s[10:11]
	s_add_u32 s10, s10, __assert_fail@rel32@lo+4
	s_addc_u32 s11, s11, __assert_fail@rel32@hi+12
	s_mov_b64 s[8:9], s[52:53]
	s_swappc_b64 s[30:31], s[10:11]
	s_or_b32 s22, s22, exec_lo
.LBB6_2766:
	s_or_b32 exec_lo, exec_lo, s21
	s_andn2_b32 s4, s64, exec_lo
	s_and_b32 s5, s22, exec_lo
	s_or_b32 s21, s4, s5
.LBB6_2767:
	s_andn2_saveexec_b32 s22, s25
	s_cbranch_execz .LBB6_2769
; %bb.2768:
	s_getpc_b64 s[4:5]
	s_add_u32 s4, s4, .str.38@rel32@lo+4
	s_addc_u32 s5, s5, .str.38@rel32@hi+12
	s_getpc_b64 s[6:7]
	s_add_u32 s6, s6, .str.31@rel32@lo+4
	s_addc_u32 s7, s7, .str.31@rel32@hi+12
	s_getpc_b64 s[8:9]
	s_add_u32 s8, s8, __PRETTY_FUNCTION__._ZN3sop17sopDivideInternalEPNS_3SopES1_S1_S1_P7VecsMemIjLi8192EE@rel32@lo+4
	s_addc_u32 s9, s9, __PRETTY_FUNCTION__._ZN3sop17sopDivideInternalEPNS_3SopES1_S1_S1_P7VecsMemIjLi8192EE@rel32@hi+12
	v_mov_b32_e32 v0, s4
	v_mov_b32_e32 v1, s5
	;; [unrolled: 1-line block ×7, first 2 shown]
	s_getpc_b64 s[10:11]
	s_add_u32 s10, s10, __assert_fail@rel32@lo+4
	s_addc_u32 s11, s11, __assert_fail@rel32@hi+12
	s_mov_b64 s[8:9], s[52:53]
	s_swappc_b64 s[30:31], s[10:11]
	s_or_b32 s21, s21, exec_lo
.LBB6_2769:
	s_or_b32 exec_lo, exec_lo, s22
	s_andn2_b32 s4, s64, exec_lo
	s_and_b32 s5, s21, exec_lo
                                        ; implicit-def: $vgpr52_vgpr53
                                        ; implicit-def: $vgpr42
                                        ; implicit-def: $vgpr47
	s_or_b32 s67, s4, s5
.LBB6_2770:
	s_andn2_saveexec_b32 s68, s24
	s_cbranch_execz .LBB6_2772
; %bb.2771:
	flat_load_dwordx3 v[5:7], v[52:53] offset:4
	v_mov_b32_e32 v3, v47
	v_mov_b32_e32 v4, v42
	s_getpc_b64 s[4:5]
	s_add_u32 s4, s4, _ZN3sop19sopFactorTrivialRecEPjiiPN8subgUtil4SubgILi256EEE@rel32@lo+4
	s_addc_u32 s5, s5, _ZN3sop19sopFactorTrivialRecEPjiiPN8subgUtil4SubgILi256EEE@rel32@hi+12
	s_mov_b64 s[8:9], s[52:53]
	s_waitcnt vmcnt(0) lgkmcnt(0)
	v_mov_b32_e32 v0, v6
	v_mov_b32_e32 v1, v7
	;; [unrolled: 1-line block ×4, first 2 shown]
	s_swappc_b64 s[30:31], s[4:5]
	v_mov_b32_e32 v41, v0
.LBB6_2772:
	s_or_b32 exec_lo, exec_lo, s68
	s_andn2_b32 s4, s64, exec_lo
	s_and_b32 s5, s67, exec_lo
	s_or_b32 s64, s4, s5
.LBB6_2773:
	s_or_b32 exec_lo, exec_lo, s66
	s_and_saveexec_b32 s4, s65
	s_xor_b32 s21, exec_lo, s4
	s_cbranch_execz .LBB6_2908
; %bb.2774:
	s_load_dwordx2 s[6:7], s[52:53], 0x50
	v_mbcnt_lo_u32_b32 v29, -1, 0
	v_mov_b32_e32 v6, 0
	v_mov_b32_e32 v7, 0
	v_readfirstlane_b32 s4, v29
	v_cmp_eq_u32_e64 s4, s4, v29
	s_and_saveexec_b32 s5, s4
	s_cbranch_execz .LBB6_2780
; %bb.2775:
	v_mov_b32_e32 v0, 0
	s_mov_b32 s8, exec_lo
	s_waitcnt lgkmcnt(0)
	global_load_dwordx2 v[3:4], v0, s[6:7] offset:24 glc dlc
	s_waitcnt vmcnt(0)
	buffer_gl1_inv
	buffer_gl0_inv
	s_clause 0x1
	global_load_dwordx2 v[1:2], v0, s[6:7] offset:40
	global_load_dwordx2 v[5:6], v0, s[6:7]
	s_waitcnt vmcnt(1)
	v_and_b32_e32 v2, v2, v4
	v_and_b32_e32 v1, v1, v3
	v_mul_lo_u32 v2, v2, 24
	v_mul_hi_u32 v7, v1, 24
	v_mul_lo_u32 v1, v1, 24
	v_add_nc_u32_e32 v2, v7, v2
	s_waitcnt vmcnt(0)
	v_add_co_u32 v1, vcc_lo, v5, v1
	v_add_co_ci_u32_e64 v2, null, v6, v2, vcc_lo
	global_load_dwordx2 v[1:2], v[1:2], off glc dlc
	s_waitcnt vmcnt(0)
	global_atomic_cmpswap_x2 v[6:7], v0, v[1:4], s[6:7] offset:24 glc
	s_waitcnt vmcnt(0)
	buffer_gl1_inv
	buffer_gl0_inv
	v_cmpx_ne_u64_e64 v[6:7], v[3:4]
	s_cbranch_execz .LBB6_2779
; %bb.2776:
	s_mov_b32 s9, 0
	.p2align	6
.LBB6_2777:                             ; =>This Inner Loop Header: Depth=1
	s_sleep 1
	s_clause 0x1
	global_load_dwordx2 v[1:2], v0, s[6:7] offset:40
	global_load_dwordx2 v[8:9], v0, s[6:7]
	v_mov_b32_e32 v3, v6
	v_mov_b32_e32 v4, v7
	s_waitcnt vmcnt(1)
	v_and_b32_e32 v1, v1, v3
	v_and_b32_e32 v2, v2, v4
	s_waitcnt vmcnt(0)
	v_mad_u64_u32 v[5:6], null, v1, 24, v[8:9]
	v_mov_b32_e32 v1, v6
	v_mad_u64_u32 v[1:2], null, v2, 24, v[1:2]
	v_mov_b32_e32 v6, v1
	global_load_dwordx2 v[1:2], v[5:6], off glc dlc
	s_waitcnt vmcnt(0)
	global_atomic_cmpswap_x2 v[6:7], v0, v[1:4], s[6:7] offset:24 glc
	s_waitcnt vmcnt(0)
	buffer_gl1_inv
	buffer_gl0_inv
	v_cmp_eq_u64_e32 vcc_lo, v[6:7], v[3:4]
	s_or_b32 s9, vcc_lo, s9
	s_andn2_b32 exec_lo, exec_lo, s9
	s_cbranch_execnz .LBB6_2777
; %bb.2778:
	s_or_b32 exec_lo, exec_lo, s9
.LBB6_2779:
	s_or_b32 exec_lo, exec_lo, s8
.LBB6_2780:
	s_or_b32 exec_lo, exec_lo, s5
	v_mov_b32_e32 v5, 0
	v_readfirstlane_b32 s9, v7
	v_readfirstlane_b32 s8, v6
	s_mov_b32 s5, exec_lo
	s_waitcnt lgkmcnt(0)
	s_clause 0x1
	global_load_dwordx2 v[8:9], v5, s[6:7] offset:40
	global_load_dwordx4 v[0:3], v5, s[6:7]
	s_waitcnt vmcnt(1)
	v_readfirstlane_b32 s10, v8
	v_readfirstlane_b32 s11, v9
	s_and_b64 s[10:11], s[10:11], s[8:9]
	s_mul_i32 s12, s11, 24
	s_mul_hi_u32 s13, s10, 24
	s_mul_i32 s14, s10, 24
	s_add_i32 s13, s13, s12
	s_waitcnt vmcnt(0)
	v_add_co_u32 v8, vcc_lo, v0, s14
	v_add_co_ci_u32_e64 v9, null, s13, v1, vcc_lo
	s_and_saveexec_b32 s12, s4
	s_cbranch_execz .LBB6_2782
; %bb.2781:
	v_mov_b32_e32 v4, s5
	v_mov_b32_e32 v6, 2
	;; [unrolled: 1-line block ×3, first 2 shown]
	global_store_dwordx4 v[8:9], v[4:7], off offset:8
.LBB6_2782:
	s_or_b32 exec_lo, exec_lo, s12
	s_lshl_b64 s[10:11], s[10:11], 12
	v_lshlrev_b32_e32 v28, 6, v29
	v_add_co_u32 v2, vcc_lo, v2, s10
	v_add_co_ci_u32_e64 v3, null, s11, v3, vcc_lo
	s_mov_b32 s12, 0
	v_add_co_u32 v10, vcc_lo, v2, v28
	s_mov_b32 s13, s12
	s_mov_b32 s14, s12
	;; [unrolled: 1-line block ×3, first 2 shown]
	v_mov_b32_e32 v4, 33
	v_mov_b32_e32 v6, v5
	;; [unrolled: 1-line block ×3, first 2 shown]
	v_readfirstlane_b32 s10, v2
	v_readfirstlane_b32 s11, v3
	v_mov_b32_e32 v12, s12
	v_add_co_ci_u32_e64 v11, null, 0, v3, vcc_lo
	v_mov_b32_e32 v13, s13
	v_mov_b32_e32 v14, s14
	;; [unrolled: 1-line block ×3, first 2 shown]
	global_store_dwordx4 v28, v[4:7], s[10:11]
	global_store_dwordx4 v28, v[12:15], s[10:11] offset:16
	global_store_dwordx4 v28, v[12:15], s[10:11] offset:32
	global_store_dwordx4 v28, v[12:15], s[10:11] offset:48
	s_and_saveexec_b32 s5, s4
	s_cbranch_execz .LBB6_2790
; %bb.2783:
	v_mov_b32_e32 v6, 0
	v_mov_b32_e32 v12, s8
	;; [unrolled: 1-line block ×3, first 2 shown]
	s_mov_b32 s10, exec_lo
	s_clause 0x1
	global_load_dwordx2 v[14:15], v6, s[6:7] offset:32 glc dlc
	global_load_dwordx2 v[2:3], v6, s[6:7] offset:40
	s_waitcnt vmcnt(0)
	v_and_b32_e32 v3, s9, v3
	v_and_b32_e32 v2, s8, v2
	v_mul_lo_u32 v3, v3, 24
	v_mul_hi_u32 v4, v2, 24
	v_mul_lo_u32 v2, v2, 24
	v_add_nc_u32_e32 v3, v4, v3
	v_add_co_u32 v4, vcc_lo, v0, v2
	v_add_co_ci_u32_e64 v5, null, v1, v3, vcc_lo
	global_store_dwordx2 v[4:5], v[14:15], off
	s_waitcnt_vscnt null, 0x0
	global_atomic_cmpswap_x2 v[2:3], v6, v[12:15], s[6:7] offset:32 glc
	s_waitcnt vmcnt(0)
	v_cmpx_ne_u64_e64 v[2:3], v[14:15]
	s_cbranch_execz .LBB6_2786
; %bb.2784:
	s_mov_b32 s11, 0
.LBB6_2785:                             ; =>This Inner Loop Header: Depth=1
	v_mov_b32_e32 v0, s8
	v_mov_b32_e32 v1, s9
	s_sleep 1
	global_store_dwordx2 v[4:5], v[2:3], off
	s_waitcnt_vscnt null, 0x0
	global_atomic_cmpswap_x2 v[0:1], v6, v[0:3], s[6:7] offset:32 glc
	s_waitcnt vmcnt(0)
	v_cmp_eq_u64_e32 vcc_lo, v[0:1], v[2:3]
	v_mov_b32_e32 v3, v1
	v_mov_b32_e32 v2, v0
	s_or_b32 s11, vcc_lo, s11
	s_andn2_b32 exec_lo, exec_lo, s11
	s_cbranch_execnz .LBB6_2785
.LBB6_2786:
	s_or_b32 exec_lo, exec_lo, s10
	v_mov_b32_e32 v3, 0
	s_mov_b32 s11, exec_lo
	s_mov_b32 s10, exec_lo
	v_mbcnt_lo_u32_b32 v2, s11, 0
	global_load_dwordx2 v[0:1], v3, s[6:7] offset:16
	v_cmpx_eq_u32_e32 0, v2
	s_cbranch_execz .LBB6_2788
; %bb.2787:
	s_bcnt1_i32_b32 s11, s11
	v_mov_b32_e32 v2, s11
	s_waitcnt vmcnt(0)
	global_atomic_add_x2 v[0:1], v[2:3], off offset:8
.LBB6_2788:
	s_or_b32 exec_lo, exec_lo, s10
	s_waitcnt vmcnt(0)
	global_load_dwordx2 v[2:3], v[0:1], off offset:16
	s_waitcnt vmcnt(0)
	v_cmp_eq_u64_e32 vcc_lo, 0, v[2:3]
	s_cbranch_vccnz .LBB6_2790
; %bb.2789:
	global_load_dword v0, v[0:1], off offset:24
	v_mov_b32_e32 v1, 0
	s_waitcnt vmcnt(0)
	v_readfirstlane_b32 s10, v0
	s_waitcnt_vscnt null, 0x0
	global_store_dwordx2 v[2:3], v[0:1], off
	s_and_b32 m0, s10, 0x7fffff
	s_sendmsg sendmsg(MSG_INTERRUPT)
.LBB6_2790:
	s_or_b32 exec_lo, exec_lo, s5
	s_branch .LBB6_2794
	.p2align	6
.LBB6_2791:                             ;   in Loop: Header=BB6_2794 Depth=1
	s_or_b32 exec_lo, exec_lo, s5
	v_readfirstlane_b32 s5, v0
	s_cmp_eq_u32 s5, 0
	s_cbranch_scc1 .LBB6_2793
; %bb.2792:                             ;   in Loop: Header=BB6_2794 Depth=1
	s_sleep 1
	s_cbranch_execnz .LBB6_2794
	s_branch .LBB6_2796
	.p2align	6
.LBB6_2793:
	s_branch .LBB6_2796
.LBB6_2794:                             ; =>This Inner Loop Header: Depth=1
	v_mov_b32_e32 v0, 1
	s_and_saveexec_b32 s5, s4
	s_cbranch_execz .LBB6_2791
; %bb.2795:                             ;   in Loop: Header=BB6_2794 Depth=1
	global_load_dword v0, v[8:9], off offset:20 glc dlc
	s_waitcnt vmcnt(0)
	buffer_gl1_inv
	buffer_gl0_inv
	v_and_b32_e32 v0, 1, v0
	s_branch .LBB6_2791
.LBB6_2796:
	global_load_dwordx2 v[0:1], v[10:11], off
	s_and_saveexec_b32 s10, s4
	s_cbranch_execz .LBB6_2800
; %bb.2797:
	v_mov_b32_e32 v8, 0
	s_clause 0x2
	global_load_dwordx2 v[2:3], v8, s[6:7] offset:40
	global_load_dwordx2 v[11:12], v8, s[6:7] offset:24 glc dlc
	global_load_dwordx2 v[4:5], v8, s[6:7]
	s_waitcnt vmcnt(2)
	v_readfirstlane_b32 s12, v2
	v_readfirstlane_b32 s13, v3
	s_add_u32 s11, s12, 1
	s_addc_u32 s14, s13, 0
	s_add_u32 s4, s11, s8
	s_addc_u32 s5, s14, s9
	s_cmp_eq_u64 s[4:5], 0
	s_cselect_b32 s5, s14, s5
	s_cselect_b32 s4, s11, s4
	v_mov_b32_e32 v10, s5
	s_and_b64 s[8:9], s[4:5], s[12:13]
	v_mov_b32_e32 v9, s4
	s_mul_i32 s9, s9, 24
	s_mul_hi_u32 s11, s8, 24
	s_mul_i32 s8, s8, 24
	s_add_i32 s11, s11, s9
	s_waitcnt vmcnt(0)
	v_add_co_u32 v6, vcc_lo, v4, s8
	v_add_co_ci_u32_e64 v7, null, s11, v5, vcc_lo
	global_store_dwordx2 v[6:7], v[11:12], off
	s_waitcnt_vscnt null, 0x0
	global_atomic_cmpswap_x2 v[4:5], v8, v[9:12], s[6:7] offset:24 glc
	s_waitcnt vmcnt(0)
	v_cmp_ne_u64_e32 vcc_lo, v[4:5], v[11:12]
	s_and_b32 exec_lo, exec_lo, vcc_lo
	s_cbranch_execz .LBB6_2800
; %bb.2798:
	s_mov_b32 s8, 0
.LBB6_2799:                             ; =>This Inner Loop Header: Depth=1
	v_mov_b32_e32 v2, s4
	v_mov_b32_e32 v3, s5
	s_sleep 1
	global_store_dwordx2 v[6:7], v[4:5], off
	s_waitcnt_vscnt null, 0x0
	global_atomic_cmpswap_x2 v[2:3], v8, v[2:5], s[6:7] offset:24 glc
	s_waitcnt vmcnt(0)
	v_cmp_eq_u64_e32 vcc_lo, v[2:3], v[4:5]
	v_mov_b32_e32 v5, v3
	v_mov_b32_e32 v4, v2
	s_or_b32 s8, vcc_lo, s8
	s_andn2_b32 exec_lo, exec_lo, s8
	s_cbranch_execnz .LBB6_2799
.LBB6_2800:
	s_or_b32 exec_lo, exec_lo, s10
	s_getpc_b64 s[8:9]
	s_add_u32 s8, s8, .str.28@rel32@lo+4
	s_addc_u32 s9, s9, .str.28@rel32@hi+12
	s_cmp_lg_u64 s[8:9], 0
	s_cbranch_scc0 .LBB6_2879
; %bb.2801:
	s_waitcnt vmcnt(0)
	v_and_b32_e32 v6, -3, v0
	v_mov_b32_e32 v7, v1
	v_mov_b32_e32 v3, 0
	;; [unrolled: 1-line block ×4, first 2 shown]
	s_mov_b64 s[10:11], 35
	s_branch .LBB6_2803
.LBB6_2802:                             ;   in Loop: Header=BB6_2803 Depth=1
	s_or_b32 exec_lo, exec_lo, s16
	s_sub_u32 s10, s10, s12
	s_subb_u32 s11, s11, s13
	s_add_u32 s8, s8, s12
	s_addc_u32 s9, s9, s13
	s_cmp_lg_u64 s[10:11], 0
	s_cbranch_scc0 .LBB6_2878
.LBB6_2803:                             ; =>This Loop Header: Depth=1
                                        ;     Child Loop BB6_2806 Depth 2
                                        ;     Child Loop BB6_2813 Depth 2
	;; [unrolled: 1-line block ×11, first 2 shown]
	v_cmp_lt_u64_e64 s4, s[10:11], 56
	v_cmp_gt_u64_e64 s14, s[10:11], 7
	s_and_b32 s4, s4, exec_lo
	s_cselect_b32 s13, s11, 0
	s_cselect_b32 s12, s10, 56
	s_add_u32 s4, s8, 8
	s_addc_u32 s5, s9, 0
	s_and_b32 vcc_lo, exec_lo, s14
	s_cbranch_vccnz .LBB6_2808
; %bb.2804:                             ;   in Loop: Header=BB6_2803 Depth=1
	s_waitcnt vmcnt(0)
	v_mov_b32_e32 v8, 0
	v_mov_b32_e32 v9, 0
	s_cmp_eq_u64 s[10:11], 0
	s_cbranch_scc1 .LBB6_2807
; %bb.2805:                             ;   in Loop: Header=BB6_2803 Depth=1
	s_lshl_b64 s[4:5], s[12:13], 3
	s_mov_b64 s[14:15], 0
	s_mov_b64 s[16:17], s[8:9]
.LBB6_2806:                             ;   Parent Loop BB6_2803 Depth=1
                                        ; =>  This Inner Loop Header: Depth=2
	global_load_ubyte v2, v3, s[16:17]
	s_waitcnt vmcnt(0)
	v_and_b32_e32 v2, 0xffff, v2
	v_lshlrev_b64 v[10:11], s14, v[2:3]
	s_add_u32 s14, s14, 8
	s_addc_u32 s15, s15, 0
	s_add_u32 s16, s16, 1
	s_addc_u32 s17, s17, 0
	s_cmp_lg_u32 s4, s14
	v_or_b32_e32 v8, v10, v8
	v_or_b32_e32 v9, v11, v9
	s_cbranch_scc1 .LBB6_2806
.LBB6_2807:                             ;   in Loop: Header=BB6_2803 Depth=1
	s_mov_b64 s[4:5], s[8:9]
	s_mov_b32 s18, 0
	s_cbranch_execz .LBB6_2809
	s_branch .LBB6_2810
.LBB6_2808:                             ;   in Loop: Header=BB6_2803 Depth=1
	s_mov_b32 s18, 0
.LBB6_2809:                             ;   in Loop: Header=BB6_2803 Depth=1
	global_load_dwordx2 v[8:9], v3, s[8:9]
	s_add_i32 s18, s12, -8
.LBB6_2810:                             ;   in Loop: Header=BB6_2803 Depth=1
	s_add_u32 s14, s4, 8
	s_addc_u32 s15, s5, 0
	s_cmp_gt_u32 s18, 7
	s_cbranch_scc1 .LBB6_2815
; %bb.2811:                             ;   in Loop: Header=BB6_2803 Depth=1
	v_mov_b32_e32 v10, 0
	v_mov_b32_e32 v11, 0
	s_cmp_eq_u32 s18, 0
	s_cbranch_scc1 .LBB6_2814
; %bb.2812:                             ;   in Loop: Header=BB6_2803 Depth=1
	s_mov_b64 s[14:15], 0
	s_mov_b64 s[16:17], 0
.LBB6_2813:                             ;   Parent Loop BB6_2803 Depth=1
                                        ; =>  This Inner Loop Header: Depth=2
	s_add_u32 s22, s4, s16
	s_addc_u32 s23, s5, s17
	s_add_u32 s16, s16, 1
	global_load_ubyte v2, v3, s[22:23]
	s_addc_u32 s17, s17, 0
	s_waitcnt vmcnt(0)
	v_and_b32_e32 v2, 0xffff, v2
	v_lshlrev_b64 v[12:13], s14, v[2:3]
	s_add_u32 s14, s14, 8
	s_addc_u32 s15, s15, 0
	s_cmp_lg_u32 s18, s16
	v_or_b32_e32 v10, v12, v10
	v_or_b32_e32 v11, v13, v11
	s_cbranch_scc1 .LBB6_2813
.LBB6_2814:                             ;   in Loop: Header=BB6_2803 Depth=1
	s_mov_b64 s[14:15], s[4:5]
	s_mov_b32 s19, 0
	s_cbranch_execz .LBB6_2816
	s_branch .LBB6_2817
.LBB6_2815:                             ;   in Loop: Header=BB6_2803 Depth=1
                                        ; implicit-def: $vgpr10_vgpr11
	s_mov_b32 s19, 0
.LBB6_2816:                             ;   in Loop: Header=BB6_2803 Depth=1
	global_load_dwordx2 v[10:11], v3, s[4:5]
	s_add_i32 s19, s18, -8
.LBB6_2817:                             ;   in Loop: Header=BB6_2803 Depth=1
	s_add_u32 s4, s14, 8
	s_addc_u32 s5, s15, 0
	s_cmp_gt_u32 s19, 7
	s_cbranch_scc1 .LBB6_2822
; %bb.2818:                             ;   in Loop: Header=BB6_2803 Depth=1
	v_mov_b32_e32 v12, 0
	v_mov_b32_e32 v13, 0
	s_cmp_eq_u32 s19, 0
	s_cbranch_scc1 .LBB6_2821
; %bb.2819:                             ;   in Loop: Header=BB6_2803 Depth=1
	s_mov_b64 s[4:5], 0
	s_mov_b64 s[16:17], 0
.LBB6_2820:                             ;   Parent Loop BB6_2803 Depth=1
                                        ; =>  This Inner Loop Header: Depth=2
	s_add_u32 s22, s14, s16
	s_addc_u32 s23, s15, s17
	s_add_u32 s16, s16, 1
	global_load_ubyte v2, v3, s[22:23]
	s_addc_u32 s17, s17, 0
	s_waitcnt vmcnt(0)
	v_and_b32_e32 v2, 0xffff, v2
	v_lshlrev_b64 v[14:15], s4, v[2:3]
	s_add_u32 s4, s4, 8
	s_addc_u32 s5, s5, 0
	s_cmp_lg_u32 s19, s16
	v_or_b32_e32 v12, v14, v12
	v_or_b32_e32 v13, v15, v13
	s_cbranch_scc1 .LBB6_2820
.LBB6_2821:                             ;   in Loop: Header=BB6_2803 Depth=1
	s_mov_b64 s[4:5], s[14:15]
	s_mov_b32 s18, 0
	s_cbranch_execz .LBB6_2823
	s_branch .LBB6_2824
.LBB6_2822:                             ;   in Loop: Header=BB6_2803 Depth=1
	s_mov_b32 s18, 0
.LBB6_2823:                             ;   in Loop: Header=BB6_2803 Depth=1
	global_load_dwordx2 v[12:13], v3, s[14:15]
	s_add_i32 s18, s19, -8
.LBB6_2824:                             ;   in Loop: Header=BB6_2803 Depth=1
	s_add_u32 s14, s4, 8
	s_addc_u32 s15, s5, 0
	s_cmp_gt_u32 s18, 7
	s_cbranch_scc1 .LBB6_2829
; %bb.2825:                             ;   in Loop: Header=BB6_2803 Depth=1
	v_mov_b32_e32 v14, 0
	v_mov_b32_e32 v15, 0
	s_cmp_eq_u32 s18, 0
	s_cbranch_scc1 .LBB6_2828
; %bb.2826:                             ;   in Loop: Header=BB6_2803 Depth=1
	s_mov_b64 s[14:15], 0
	s_mov_b64 s[16:17], 0
.LBB6_2827:                             ;   Parent Loop BB6_2803 Depth=1
                                        ; =>  This Inner Loop Header: Depth=2
	s_add_u32 s22, s4, s16
	s_addc_u32 s23, s5, s17
	s_add_u32 s16, s16, 1
	global_load_ubyte v2, v3, s[22:23]
	s_addc_u32 s17, s17, 0
	s_waitcnt vmcnt(0)
	v_and_b32_e32 v2, 0xffff, v2
	v_lshlrev_b64 v[16:17], s14, v[2:3]
	s_add_u32 s14, s14, 8
	s_addc_u32 s15, s15, 0
	s_cmp_lg_u32 s18, s16
	v_or_b32_e32 v14, v16, v14
	v_or_b32_e32 v15, v17, v15
	s_cbranch_scc1 .LBB6_2827
.LBB6_2828:                             ;   in Loop: Header=BB6_2803 Depth=1
	s_mov_b64 s[14:15], s[4:5]
	s_mov_b32 s19, 0
	s_cbranch_execz .LBB6_2830
	s_branch .LBB6_2831
.LBB6_2829:                             ;   in Loop: Header=BB6_2803 Depth=1
                                        ; implicit-def: $vgpr14_vgpr15
	s_mov_b32 s19, 0
.LBB6_2830:                             ;   in Loop: Header=BB6_2803 Depth=1
	global_load_dwordx2 v[14:15], v3, s[4:5]
	s_add_i32 s19, s18, -8
.LBB6_2831:                             ;   in Loop: Header=BB6_2803 Depth=1
	s_add_u32 s4, s14, 8
	s_addc_u32 s5, s15, 0
	s_cmp_gt_u32 s19, 7
	s_cbranch_scc1 .LBB6_2836
; %bb.2832:                             ;   in Loop: Header=BB6_2803 Depth=1
	v_mov_b32_e32 v16, 0
	v_mov_b32_e32 v17, 0
	s_cmp_eq_u32 s19, 0
	s_cbranch_scc1 .LBB6_2835
; %bb.2833:                             ;   in Loop: Header=BB6_2803 Depth=1
	s_mov_b64 s[4:5], 0
	s_mov_b64 s[16:17], 0
.LBB6_2834:                             ;   Parent Loop BB6_2803 Depth=1
                                        ; =>  This Inner Loop Header: Depth=2
	s_add_u32 s22, s14, s16
	s_addc_u32 s23, s15, s17
	s_add_u32 s16, s16, 1
	global_load_ubyte v2, v3, s[22:23]
	s_addc_u32 s17, s17, 0
	s_waitcnt vmcnt(0)
	v_and_b32_e32 v2, 0xffff, v2
	v_lshlrev_b64 v[18:19], s4, v[2:3]
	s_add_u32 s4, s4, 8
	s_addc_u32 s5, s5, 0
	s_cmp_lg_u32 s19, s16
	v_or_b32_e32 v16, v18, v16
	v_or_b32_e32 v17, v19, v17
	s_cbranch_scc1 .LBB6_2834
.LBB6_2835:                             ;   in Loop: Header=BB6_2803 Depth=1
	s_mov_b64 s[4:5], s[14:15]
	s_mov_b32 s18, 0
	s_cbranch_execz .LBB6_2837
	s_branch .LBB6_2838
.LBB6_2836:                             ;   in Loop: Header=BB6_2803 Depth=1
	s_mov_b32 s18, 0
.LBB6_2837:                             ;   in Loop: Header=BB6_2803 Depth=1
	global_load_dwordx2 v[16:17], v3, s[14:15]
	s_add_i32 s18, s19, -8
.LBB6_2838:                             ;   in Loop: Header=BB6_2803 Depth=1
	s_add_u32 s14, s4, 8
	s_addc_u32 s15, s5, 0
	s_cmp_gt_u32 s18, 7
	s_cbranch_scc1 .LBB6_2843
; %bb.2839:                             ;   in Loop: Header=BB6_2803 Depth=1
	v_mov_b32_e32 v18, 0
	v_mov_b32_e32 v19, 0
	s_cmp_eq_u32 s18, 0
	s_cbranch_scc1 .LBB6_2842
; %bb.2840:                             ;   in Loop: Header=BB6_2803 Depth=1
	s_mov_b64 s[14:15], 0
	s_mov_b64 s[16:17], 0
.LBB6_2841:                             ;   Parent Loop BB6_2803 Depth=1
                                        ; =>  This Inner Loop Header: Depth=2
	s_add_u32 s22, s4, s16
	s_addc_u32 s23, s5, s17
	s_add_u32 s16, s16, 1
	global_load_ubyte v2, v3, s[22:23]
	s_addc_u32 s17, s17, 0
	s_waitcnt vmcnt(0)
	v_and_b32_e32 v2, 0xffff, v2
	v_lshlrev_b64 v[20:21], s14, v[2:3]
	s_add_u32 s14, s14, 8
	s_addc_u32 s15, s15, 0
	s_cmp_lg_u32 s18, s16
	v_or_b32_e32 v18, v20, v18
	v_or_b32_e32 v19, v21, v19
	s_cbranch_scc1 .LBB6_2841
.LBB6_2842:                             ;   in Loop: Header=BB6_2803 Depth=1
	s_mov_b64 s[14:15], s[4:5]
	s_mov_b32 s19, 0
	s_cbranch_execz .LBB6_2844
	s_branch .LBB6_2845
.LBB6_2843:                             ;   in Loop: Header=BB6_2803 Depth=1
                                        ; implicit-def: $vgpr18_vgpr19
	s_mov_b32 s19, 0
.LBB6_2844:                             ;   in Loop: Header=BB6_2803 Depth=1
	global_load_dwordx2 v[18:19], v3, s[4:5]
	s_add_i32 s19, s18, -8
.LBB6_2845:                             ;   in Loop: Header=BB6_2803 Depth=1
	s_cmp_gt_u32 s19, 7
	s_cbranch_scc1 .LBB6_2850
; %bb.2846:                             ;   in Loop: Header=BB6_2803 Depth=1
	v_mov_b32_e32 v20, 0
	v_mov_b32_e32 v21, 0
	s_cmp_eq_u32 s19, 0
	s_cbranch_scc1 .LBB6_2849
; %bb.2847:                             ;   in Loop: Header=BB6_2803 Depth=1
	s_mov_b64 s[4:5], 0
	s_mov_b64 s[16:17], s[14:15]
.LBB6_2848:                             ;   Parent Loop BB6_2803 Depth=1
                                        ; =>  This Inner Loop Header: Depth=2
	global_load_ubyte v2, v3, s[16:17]
	s_add_i32 s19, s19, -1
	s_waitcnt vmcnt(0)
	v_and_b32_e32 v2, 0xffff, v2
	v_lshlrev_b64 v[22:23], s4, v[2:3]
	s_add_u32 s4, s4, 8
	s_addc_u32 s5, s5, 0
	s_add_u32 s16, s16, 1
	s_addc_u32 s17, s17, 0
	s_cmp_lg_u32 s19, 0
	v_or_b32_e32 v20, v22, v20
	v_or_b32_e32 v21, v23, v21
	s_cbranch_scc1 .LBB6_2848
.LBB6_2849:                             ;   in Loop: Header=BB6_2803 Depth=1
	s_cbranch_execz .LBB6_2851
	s_branch .LBB6_2852
.LBB6_2850:                             ;   in Loop: Header=BB6_2803 Depth=1
.LBB6_2851:                             ;   in Loop: Header=BB6_2803 Depth=1
	global_load_dwordx2 v[20:21], v3, s[14:15]
.LBB6_2852:                             ;   in Loop: Header=BB6_2803 Depth=1
	v_readfirstlane_b32 s4, v29
	v_mov_b32_e32 v26, 0
	v_mov_b32_e32 v27, 0
	v_cmp_eq_u32_e64 s4, s4, v29
	s_and_saveexec_b32 s5, s4
	s_cbranch_execz .LBB6_2858
; %bb.2853:                             ;   in Loop: Header=BB6_2803 Depth=1
	global_load_dwordx2 v[24:25], v3, s[6:7] offset:24 glc dlc
	s_waitcnt vmcnt(0)
	buffer_gl1_inv
	buffer_gl0_inv
	s_clause 0x1
	global_load_dwordx2 v[22:23], v3, s[6:7] offset:40
	global_load_dwordx2 v[26:27], v3, s[6:7]
	s_mov_b32 s14, exec_lo
	s_waitcnt vmcnt(1)
	v_and_b32_e32 v2, v23, v25
	v_and_b32_e32 v22, v22, v24
	v_mul_lo_u32 v2, v2, 24
	v_mul_hi_u32 v23, v22, 24
	v_mul_lo_u32 v22, v22, 24
	v_add_nc_u32_e32 v2, v23, v2
	s_waitcnt vmcnt(0)
	v_add_co_u32 v22, vcc_lo, v26, v22
	v_add_co_ci_u32_e64 v23, null, v27, v2, vcc_lo
	global_load_dwordx2 v[22:23], v[22:23], off glc dlc
	s_waitcnt vmcnt(0)
	global_atomic_cmpswap_x2 v[26:27], v3, v[22:25], s[6:7] offset:24 glc
	s_waitcnt vmcnt(0)
	buffer_gl1_inv
	buffer_gl0_inv
	v_cmpx_ne_u64_e64 v[26:27], v[24:25]
	s_cbranch_execz .LBB6_2857
; %bb.2854:                             ;   in Loop: Header=BB6_2803 Depth=1
	s_mov_b32 s15, 0
	.p2align	6
.LBB6_2855:                             ;   Parent Loop BB6_2803 Depth=1
                                        ; =>  This Inner Loop Header: Depth=2
	s_sleep 1
	s_clause 0x1
	global_load_dwordx2 v[22:23], v3, s[6:7] offset:40
	global_load_dwordx2 v[30:31], v3, s[6:7]
	v_mov_b32_e32 v24, v26
	v_mov_b32_e32 v25, v27
	s_waitcnt vmcnt(1)
	v_and_b32_e32 v2, v22, v24
	v_and_b32_e32 v22, v23, v25
	s_waitcnt vmcnt(0)
	v_mad_u64_u32 v[26:27], null, v2, 24, v[30:31]
	v_mov_b32_e32 v2, v27
	v_mad_u64_u32 v[22:23], null, v22, 24, v[2:3]
	v_mov_b32_e32 v27, v22
	global_load_dwordx2 v[22:23], v[26:27], off glc dlc
	s_waitcnt vmcnt(0)
	global_atomic_cmpswap_x2 v[26:27], v3, v[22:25], s[6:7] offset:24 glc
	s_waitcnt vmcnt(0)
	buffer_gl1_inv
	buffer_gl0_inv
	v_cmp_eq_u64_e32 vcc_lo, v[26:27], v[24:25]
	s_or_b32 s15, vcc_lo, s15
	s_andn2_b32 exec_lo, exec_lo, s15
	s_cbranch_execnz .LBB6_2855
; %bb.2856:                             ;   in Loop: Header=BB6_2803 Depth=1
	s_or_b32 exec_lo, exec_lo, s15
.LBB6_2857:                             ;   in Loop: Header=BB6_2803 Depth=1
	s_or_b32 exec_lo, exec_lo, s14
.LBB6_2858:                             ;   in Loop: Header=BB6_2803 Depth=1
	s_or_b32 exec_lo, exec_lo, s5
	s_clause 0x1
	global_load_dwordx2 v[30:31], v3, s[6:7] offset:40
	global_load_dwordx4 v[22:25], v3, s[6:7]
	v_readfirstlane_b32 s15, v27
	v_readfirstlane_b32 s14, v26
	s_mov_b32 s5, exec_lo
	s_waitcnt vmcnt(1)
	v_readfirstlane_b32 s16, v30
	v_readfirstlane_b32 s17, v31
	s_and_b64 s[16:17], s[16:17], s[14:15]
	s_mul_i32 s18, s17, 24
	s_mul_hi_u32 s19, s16, 24
	s_mul_i32 s20, s16, 24
	s_add_i32 s19, s19, s18
	s_waitcnt vmcnt(0)
	v_add_co_u32 v26, vcc_lo, v22, s20
	v_add_co_ci_u32_e64 v27, null, s19, v23, vcc_lo
	s_and_saveexec_b32 s18, s4
	s_cbranch_execz .LBB6_2860
; %bb.2859:                             ;   in Loop: Header=BB6_2803 Depth=1
	v_mov_b32_e32 v2, s5
	global_store_dwordx4 v[26:27], v[2:5], off offset:8
.LBB6_2860:                             ;   in Loop: Header=BB6_2803 Depth=1
	s_or_b32 exec_lo, exec_lo, s18
	v_cmp_gt_u64_e64 s5, s[10:11], 56
	s_lshl_b64 s[16:17], s[16:17], 12
	v_and_b32_e32 v2, 0xffffff1f, v6
	v_add_co_u32 v24, vcc_lo, v24, s16
	v_add_co_ci_u32_e64 v25, null, s17, v25, vcc_lo
	s_and_b32 s5, s5, exec_lo
	s_cselect_b32 s5, 0, 2
	s_lshl_b32 s18, s12, 2
	v_or_b32_e32 v2, s5, v2
	v_readfirstlane_b32 s16, v24
	v_readfirstlane_b32 s17, v25
	s_add_i32 s18, s18, 28
	v_and_or_b32 v6, 0x1e0, s18, v2
	global_store_dwordx4 v28, v[10:13], s[16:17] offset:16
	global_store_dwordx4 v28, v[14:17], s[16:17] offset:32
	global_store_dwordx4 v28, v[6:9], s[16:17]
	global_store_dwordx4 v28, v[18:21], s[16:17] offset:48
	s_and_saveexec_b32 s5, s4
	s_cbranch_execz .LBB6_2868
; %bb.2861:                             ;   in Loop: Header=BB6_2803 Depth=1
	s_clause 0x1
	global_load_dwordx2 v[14:15], v3, s[6:7] offset:32 glc dlc
	global_load_dwordx2 v[6:7], v3, s[6:7] offset:40
	v_mov_b32_e32 v12, s14
	v_mov_b32_e32 v13, s15
	s_waitcnt vmcnt(0)
	v_readfirstlane_b32 s16, v6
	v_readfirstlane_b32 s17, v7
	s_and_b64 s[16:17], s[16:17], s[14:15]
	s_mul_i32 s17, s17, 24
	s_mul_hi_u32 s18, s16, 24
	s_mul_i32 s16, s16, 24
	s_add_i32 s18, s18, s17
	v_add_co_u32 v10, vcc_lo, v22, s16
	v_add_co_ci_u32_e64 v11, null, s18, v23, vcc_lo
	s_mov_b32 s16, exec_lo
	global_store_dwordx2 v[10:11], v[14:15], off
	s_waitcnt_vscnt null, 0x0
	global_atomic_cmpswap_x2 v[8:9], v3, v[12:15], s[6:7] offset:32 glc
	s_waitcnt vmcnt(0)
	v_cmpx_ne_u64_e64 v[8:9], v[14:15]
	s_cbranch_execz .LBB6_2864
; %bb.2862:                             ;   in Loop: Header=BB6_2803 Depth=1
	s_mov_b32 s17, 0
.LBB6_2863:                             ;   Parent Loop BB6_2803 Depth=1
                                        ; =>  This Inner Loop Header: Depth=2
	v_mov_b32_e32 v6, s14
	v_mov_b32_e32 v7, s15
	s_sleep 1
	global_store_dwordx2 v[10:11], v[8:9], off
	s_waitcnt_vscnt null, 0x0
	global_atomic_cmpswap_x2 v[6:7], v3, v[6:9], s[6:7] offset:32 glc
	s_waitcnt vmcnt(0)
	v_cmp_eq_u64_e32 vcc_lo, v[6:7], v[8:9]
	v_mov_b32_e32 v9, v7
	v_mov_b32_e32 v8, v6
	s_or_b32 s17, vcc_lo, s17
	s_andn2_b32 exec_lo, exec_lo, s17
	s_cbranch_execnz .LBB6_2863
.LBB6_2864:                             ;   in Loop: Header=BB6_2803 Depth=1
	s_or_b32 exec_lo, exec_lo, s16
	global_load_dwordx2 v[6:7], v3, s[6:7] offset:16
	s_mov_b32 s17, exec_lo
	s_mov_b32 s16, exec_lo
	v_mbcnt_lo_u32_b32 v2, s17, 0
	v_cmpx_eq_u32_e32 0, v2
	s_cbranch_execz .LBB6_2866
; %bb.2865:                             ;   in Loop: Header=BB6_2803 Depth=1
	s_bcnt1_i32_b32 s17, s17
	v_mov_b32_e32 v2, s17
	s_waitcnt vmcnt(0)
	global_atomic_add_x2 v[6:7], v[2:3], off offset:8
.LBB6_2866:                             ;   in Loop: Header=BB6_2803 Depth=1
	s_or_b32 exec_lo, exec_lo, s16
	s_waitcnt vmcnt(0)
	global_load_dwordx2 v[8:9], v[6:7], off offset:16
	s_waitcnt vmcnt(0)
	v_cmp_eq_u64_e32 vcc_lo, 0, v[8:9]
	s_cbranch_vccnz .LBB6_2868
; %bb.2867:                             ;   in Loop: Header=BB6_2803 Depth=1
	global_load_dword v2, v[6:7], off offset:24
	s_waitcnt vmcnt(0)
	v_readfirstlane_b32 s16, v2
	s_waitcnt_vscnt null, 0x0
	global_store_dwordx2 v[8:9], v[2:3], off
	s_and_b32 m0, s16, 0x7fffff
	s_sendmsg sendmsg(MSG_INTERRUPT)
.LBB6_2868:                             ;   in Loop: Header=BB6_2803 Depth=1
	s_or_b32 exec_lo, exec_lo, s5
	v_add_co_u32 v6, vcc_lo, v24, v28
	v_add_co_ci_u32_e64 v7, null, 0, v25, vcc_lo
	s_branch .LBB6_2872
	.p2align	6
.LBB6_2869:                             ;   in Loop: Header=BB6_2872 Depth=2
	s_or_b32 exec_lo, exec_lo, s5
	v_readfirstlane_b32 s5, v2
	s_cmp_eq_u32 s5, 0
	s_cbranch_scc1 .LBB6_2871
; %bb.2870:                             ;   in Loop: Header=BB6_2872 Depth=2
	s_sleep 1
	s_cbranch_execnz .LBB6_2872
	s_branch .LBB6_2874
	.p2align	6
.LBB6_2871:                             ;   in Loop: Header=BB6_2803 Depth=1
	s_branch .LBB6_2874
.LBB6_2872:                             ;   Parent Loop BB6_2803 Depth=1
                                        ; =>  This Inner Loop Header: Depth=2
	v_mov_b32_e32 v2, 1
	s_and_saveexec_b32 s5, s4
	s_cbranch_execz .LBB6_2869
; %bb.2873:                             ;   in Loop: Header=BB6_2872 Depth=2
	global_load_dword v2, v[26:27], off offset:20 glc dlc
	s_waitcnt vmcnt(0)
	buffer_gl1_inv
	buffer_gl0_inv
	v_and_b32_e32 v2, 1, v2
	s_branch .LBB6_2869
.LBB6_2874:                             ;   in Loop: Header=BB6_2803 Depth=1
	global_load_dwordx4 v[6:9], v[6:7], off
	s_and_saveexec_b32 s16, s4
	s_cbranch_execz .LBB6_2802
; %bb.2875:                             ;   in Loop: Header=BB6_2803 Depth=1
	s_clause 0x2
	global_load_dwordx2 v[8:9], v3, s[6:7] offset:40
	global_load_dwordx2 v[16:17], v3, s[6:7] offset:24 glc dlc
	global_load_dwordx2 v[10:11], v3, s[6:7]
	s_waitcnt vmcnt(2)
	v_readfirstlane_b32 s18, v8
	v_readfirstlane_b32 s19, v9
	s_add_u32 s17, s18, 1
	s_addc_u32 s20, s19, 0
	s_add_u32 s4, s17, s14
	s_addc_u32 s5, s20, s15
	s_cmp_eq_u64 s[4:5], 0
	s_cselect_b32 s5, s20, s5
	s_cselect_b32 s4, s17, s4
	v_mov_b32_e32 v15, s5
	s_and_b64 s[14:15], s[4:5], s[18:19]
	v_mov_b32_e32 v14, s4
	s_mul_i32 s15, s15, 24
	s_mul_hi_u32 s17, s14, 24
	s_mul_i32 s14, s14, 24
	s_add_i32 s17, s17, s15
	s_waitcnt vmcnt(0)
	v_add_co_u32 v12, vcc_lo, v10, s14
	v_add_co_ci_u32_e64 v13, null, s17, v11, vcc_lo
	global_store_dwordx2 v[12:13], v[16:17], off
	s_waitcnt_vscnt null, 0x0
	global_atomic_cmpswap_x2 v[10:11], v3, v[14:17], s[6:7] offset:24 glc
	s_waitcnt vmcnt(0)
	v_cmp_ne_u64_e32 vcc_lo, v[10:11], v[16:17]
	s_and_b32 exec_lo, exec_lo, vcc_lo
	s_cbranch_execz .LBB6_2802
; %bb.2876:                             ;   in Loop: Header=BB6_2803 Depth=1
	s_mov_b32 s14, 0
.LBB6_2877:                             ;   Parent Loop BB6_2803 Depth=1
                                        ; =>  This Inner Loop Header: Depth=2
	v_mov_b32_e32 v8, s4
	v_mov_b32_e32 v9, s5
	s_sleep 1
	global_store_dwordx2 v[12:13], v[10:11], off
	s_waitcnt_vscnt null, 0x0
	global_atomic_cmpswap_x2 v[8:9], v3, v[8:11], s[6:7] offset:24 glc
	s_waitcnt vmcnt(0)
	v_cmp_eq_u64_e32 vcc_lo, v[8:9], v[10:11]
	v_mov_b32_e32 v11, v9
	v_mov_b32_e32 v10, v8
	s_or_b32 s14, vcc_lo, s14
	s_andn2_b32 exec_lo, exec_lo, s14
	s_cbranch_execnz .LBB6_2877
	s_branch .LBB6_2802
.LBB6_2878:
	s_branch .LBB6_2907
.LBB6_2879:
	s_cbranch_execz .LBB6_2907
; %bb.2880:
	v_readfirstlane_b32 s4, v29
	s_waitcnt vmcnt(0)
	v_mov_b32_e32 v8, 0
	v_mov_b32_e32 v9, 0
	v_cmp_eq_u32_e64 s4, s4, v29
	s_and_saveexec_b32 s5, s4
	s_cbranch_execz .LBB6_2886
; %bb.2881:
	v_mov_b32_e32 v2, 0
	s_mov_b32 s8, exec_lo
	global_load_dwordx2 v[5:6], v2, s[6:7] offset:24 glc dlc
	s_waitcnt vmcnt(0)
	buffer_gl1_inv
	buffer_gl0_inv
	s_clause 0x1
	global_load_dwordx2 v[3:4], v2, s[6:7] offset:40
	global_load_dwordx2 v[7:8], v2, s[6:7]
	s_waitcnt vmcnt(1)
	v_and_b32_e32 v4, v4, v6
	v_and_b32_e32 v3, v3, v5
	v_mul_lo_u32 v4, v4, 24
	v_mul_hi_u32 v9, v3, 24
	v_mul_lo_u32 v3, v3, 24
	v_add_nc_u32_e32 v4, v9, v4
	s_waitcnt vmcnt(0)
	v_add_co_u32 v3, vcc_lo, v7, v3
	v_add_co_ci_u32_e64 v4, null, v8, v4, vcc_lo
	global_load_dwordx2 v[3:4], v[3:4], off glc dlc
	s_waitcnt vmcnt(0)
	global_atomic_cmpswap_x2 v[8:9], v2, v[3:6], s[6:7] offset:24 glc
	s_waitcnt vmcnt(0)
	buffer_gl1_inv
	buffer_gl0_inv
	v_cmpx_ne_u64_e64 v[8:9], v[5:6]
	s_cbranch_execz .LBB6_2885
; %bb.2882:
	s_mov_b32 s9, 0
	.p2align	6
.LBB6_2883:                             ; =>This Inner Loop Header: Depth=1
	s_sleep 1
	s_clause 0x1
	global_load_dwordx2 v[3:4], v2, s[6:7] offset:40
	global_load_dwordx2 v[10:11], v2, s[6:7]
	v_mov_b32_e32 v5, v8
	v_mov_b32_e32 v6, v9
	s_waitcnt vmcnt(1)
	v_and_b32_e32 v3, v3, v5
	v_and_b32_e32 v4, v4, v6
	s_waitcnt vmcnt(0)
	v_mad_u64_u32 v[7:8], null, v3, 24, v[10:11]
	v_mov_b32_e32 v3, v8
	v_mad_u64_u32 v[3:4], null, v4, 24, v[3:4]
	v_mov_b32_e32 v8, v3
	global_load_dwordx2 v[3:4], v[7:8], off glc dlc
	s_waitcnt vmcnt(0)
	global_atomic_cmpswap_x2 v[8:9], v2, v[3:6], s[6:7] offset:24 glc
	s_waitcnt vmcnt(0)
	buffer_gl1_inv
	buffer_gl0_inv
	v_cmp_eq_u64_e32 vcc_lo, v[8:9], v[5:6]
	s_or_b32 s9, vcc_lo, s9
	s_andn2_b32 exec_lo, exec_lo, s9
	s_cbranch_execnz .LBB6_2883
; %bb.2884:
	s_or_b32 exec_lo, exec_lo, s9
.LBB6_2885:
	s_or_b32 exec_lo, exec_lo, s8
.LBB6_2886:
	s_or_b32 exec_lo, exec_lo, s5
	v_mov_b32_e32 v2, 0
	v_readfirstlane_b32 s9, v9
	v_readfirstlane_b32 s8, v8
	s_mov_b32 s5, exec_lo
	s_clause 0x1
	global_load_dwordx2 v[10:11], v2, s[6:7] offset:40
	global_load_dwordx4 v[4:7], v2, s[6:7]
	s_waitcnt vmcnt(1)
	v_readfirstlane_b32 s10, v10
	v_readfirstlane_b32 s11, v11
	s_and_b64 s[10:11], s[10:11], s[8:9]
	s_mul_i32 s12, s11, 24
	s_mul_hi_u32 s13, s10, 24
	s_mul_i32 s14, s10, 24
	s_add_i32 s13, s13, s12
	s_waitcnt vmcnt(0)
	v_add_co_u32 v8, vcc_lo, v4, s14
	v_add_co_ci_u32_e64 v9, null, s13, v5, vcc_lo
	s_and_saveexec_b32 s12, s4
	s_cbranch_execz .LBB6_2888
; %bb.2887:
	v_mov_b32_e32 v10, s5
	v_mov_b32_e32 v11, v2
	;; [unrolled: 1-line block ×4, first 2 shown]
	global_store_dwordx4 v[8:9], v[10:13], off offset:8
.LBB6_2888:
	s_or_b32 exec_lo, exec_lo, s12
	s_lshl_b64 s[10:11], s[10:11], 12
	s_mov_b32 s12, 0
	v_add_co_u32 v6, vcc_lo, v6, s10
	v_add_co_ci_u32_e64 v7, null, s11, v7, vcc_lo
	s_mov_b32 s13, s12
	s_mov_b32 s14, s12
	;; [unrolled: 1-line block ×3, first 2 shown]
	v_and_or_b32 v0, 0xffffff1d, v0, 34
	v_mov_b32_e32 v3, v2
	v_readfirstlane_b32 s10, v6
	v_readfirstlane_b32 s11, v7
	v_mov_b32_e32 v10, s12
	v_mov_b32_e32 v11, s13
	;; [unrolled: 1-line block ×4, first 2 shown]
	global_store_dwordx4 v28, v[0:3], s[10:11]
	global_store_dwordx4 v28, v[10:13], s[10:11] offset:16
	global_store_dwordx4 v28, v[10:13], s[10:11] offset:32
	;; [unrolled: 1-line block ×3, first 2 shown]
	s_and_saveexec_b32 s5, s4
	s_cbranch_execz .LBB6_2896
; %bb.2889:
	v_mov_b32_e32 v6, 0
	v_mov_b32_e32 v10, s8
	;; [unrolled: 1-line block ×3, first 2 shown]
	s_clause 0x1
	global_load_dwordx2 v[12:13], v6, s[6:7] offset:32 glc dlc
	global_load_dwordx2 v[0:1], v6, s[6:7] offset:40
	s_waitcnt vmcnt(0)
	v_readfirstlane_b32 s10, v0
	v_readfirstlane_b32 s11, v1
	s_and_b64 s[10:11], s[10:11], s[8:9]
	s_mul_i32 s11, s11, 24
	s_mul_hi_u32 s12, s10, 24
	s_mul_i32 s10, s10, 24
	s_add_i32 s12, s12, s11
	v_add_co_u32 v4, vcc_lo, v4, s10
	v_add_co_ci_u32_e64 v5, null, s12, v5, vcc_lo
	s_mov_b32 s10, exec_lo
	global_store_dwordx2 v[4:5], v[12:13], off
	s_waitcnt_vscnt null, 0x0
	global_atomic_cmpswap_x2 v[2:3], v6, v[10:13], s[6:7] offset:32 glc
	s_waitcnt vmcnt(0)
	v_cmpx_ne_u64_e64 v[2:3], v[12:13]
	s_cbranch_execz .LBB6_2892
; %bb.2890:
	s_mov_b32 s11, 0
.LBB6_2891:                             ; =>This Inner Loop Header: Depth=1
	v_mov_b32_e32 v0, s8
	v_mov_b32_e32 v1, s9
	s_sleep 1
	global_store_dwordx2 v[4:5], v[2:3], off
	s_waitcnt_vscnt null, 0x0
	global_atomic_cmpswap_x2 v[0:1], v6, v[0:3], s[6:7] offset:32 glc
	s_waitcnt vmcnt(0)
	v_cmp_eq_u64_e32 vcc_lo, v[0:1], v[2:3]
	v_mov_b32_e32 v3, v1
	v_mov_b32_e32 v2, v0
	s_or_b32 s11, vcc_lo, s11
	s_andn2_b32 exec_lo, exec_lo, s11
	s_cbranch_execnz .LBB6_2891
.LBB6_2892:
	s_or_b32 exec_lo, exec_lo, s10
	v_mov_b32_e32 v3, 0
	s_mov_b32 s11, exec_lo
	s_mov_b32 s10, exec_lo
	v_mbcnt_lo_u32_b32 v2, s11, 0
	global_load_dwordx2 v[0:1], v3, s[6:7] offset:16
	v_cmpx_eq_u32_e32 0, v2
	s_cbranch_execz .LBB6_2894
; %bb.2893:
	s_bcnt1_i32_b32 s11, s11
	v_mov_b32_e32 v2, s11
	s_waitcnt vmcnt(0)
	global_atomic_add_x2 v[0:1], v[2:3], off offset:8
.LBB6_2894:
	s_or_b32 exec_lo, exec_lo, s10
	s_waitcnt vmcnt(0)
	global_load_dwordx2 v[2:3], v[0:1], off offset:16
	s_waitcnt vmcnt(0)
	v_cmp_eq_u64_e32 vcc_lo, 0, v[2:3]
	s_cbranch_vccnz .LBB6_2896
; %bb.2895:
	global_load_dword v0, v[0:1], off offset:24
	v_mov_b32_e32 v1, 0
	s_waitcnt vmcnt(0)
	v_readfirstlane_b32 s10, v0
	s_waitcnt_vscnt null, 0x0
	global_store_dwordx2 v[2:3], v[0:1], off
	s_and_b32 m0, s10, 0x7fffff
	s_sendmsg sendmsg(MSG_INTERRUPT)
.LBB6_2896:
	s_or_b32 exec_lo, exec_lo, s5
	s_branch .LBB6_2900
	.p2align	6
.LBB6_2897:                             ;   in Loop: Header=BB6_2900 Depth=1
	s_or_b32 exec_lo, exec_lo, s5
	v_readfirstlane_b32 s5, v0
	s_cmp_eq_u32 s5, 0
	s_cbranch_scc1 .LBB6_2899
; %bb.2898:                             ;   in Loop: Header=BB6_2900 Depth=1
	s_sleep 1
	s_cbranch_execnz .LBB6_2900
	s_branch .LBB6_2902
	.p2align	6
.LBB6_2899:
	s_branch .LBB6_2902
.LBB6_2900:                             ; =>This Inner Loop Header: Depth=1
	v_mov_b32_e32 v0, 1
	s_and_saveexec_b32 s5, s4
	s_cbranch_execz .LBB6_2897
; %bb.2901:                             ;   in Loop: Header=BB6_2900 Depth=1
	global_load_dword v0, v[8:9], off offset:20 glc dlc
	s_waitcnt vmcnt(0)
	buffer_gl1_inv
	buffer_gl0_inv
	v_and_b32_e32 v0, 1, v0
	s_branch .LBB6_2897
.LBB6_2902:
	s_and_saveexec_b32 s10, s4
	s_cbranch_execz .LBB6_2906
; %bb.2903:
	v_mov_b32_e32 v6, 0
	s_clause 0x2
	global_load_dwordx2 v[0:1], v6, s[6:7] offset:40
	global_load_dwordx2 v[9:10], v6, s[6:7] offset:24 glc dlc
	global_load_dwordx2 v[2:3], v6, s[6:7]
	s_waitcnt vmcnt(2)
	v_readfirstlane_b32 s12, v0
	v_readfirstlane_b32 s13, v1
	s_add_u32 s11, s12, 1
	s_addc_u32 s14, s13, 0
	s_add_u32 s4, s11, s8
	s_addc_u32 s5, s14, s9
	s_cmp_eq_u64 s[4:5], 0
	s_cselect_b32 s5, s14, s5
	s_cselect_b32 s4, s11, s4
	v_mov_b32_e32 v8, s5
	s_and_b64 s[8:9], s[4:5], s[12:13]
	v_mov_b32_e32 v7, s4
	s_mul_i32 s9, s9, 24
	s_mul_hi_u32 s11, s8, 24
	s_mul_i32 s8, s8, 24
	s_add_i32 s11, s11, s9
	s_waitcnt vmcnt(0)
	v_add_co_u32 v4, vcc_lo, v2, s8
	v_add_co_ci_u32_e64 v5, null, s11, v3, vcc_lo
	global_store_dwordx2 v[4:5], v[9:10], off
	s_waitcnt_vscnt null, 0x0
	global_atomic_cmpswap_x2 v[2:3], v6, v[7:10], s[6:7] offset:24 glc
	s_waitcnt vmcnt(0)
	v_cmp_ne_u64_e32 vcc_lo, v[2:3], v[9:10]
	s_and_b32 exec_lo, exec_lo, vcc_lo
	s_cbranch_execz .LBB6_2906
; %bb.2904:
	s_mov_b32 s8, 0
.LBB6_2905:                             ; =>This Inner Loop Header: Depth=1
	v_mov_b32_e32 v0, s4
	v_mov_b32_e32 v1, s5
	s_sleep 1
	global_store_dwordx2 v[4:5], v[2:3], off
	s_waitcnt_vscnt null, 0x0
	global_atomic_cmpswap_x2 v[0:1], v6, v[0:3], s[6:7] offset:24 glc
	s_waitcnt vmcnt(0)
	v_cmp_eq_u64_e32 vcc_lo, v[0:1], v[2:3]
	v_mov_b32_e32 v3, v1
	v_mov_b32_e32 v2, v0
	s_or_b32 s8, vcc_lo, s8
	s_andn2_b32 exec_lo, exec_lo, s8
	s_cbranch_execnz .LBB6_2905
.LBB6_2906:
	s_or_b32 exec_lo, exec_lo, s10
.LBB6_2907:
	s_getpc_b64 s[4:5]
	s_add_u32 s4, s4, .str.29@rel32@lo+4
	s_addc_u32 s5, s5, .str.29@rel32@hi+12
	s_getpc_b64 s[6:7]
	s_add_u32 s6, s6, .str.19@rel32@lo+4
	s_addc_u32 s7, s7, .str.19@rel32@hi+12
	s_getpc_b64 s[8:9]
	s_add_u32 s8, s8, __PRETTY_FUNCTION__._ZN7VecsMemIjLi8192EE5fetchEi@rel32@lo+4
	s_addc_u32 s9, s9, __PRETTY_FUNCTION__._ZN7VecsMemIjLi8192EE5fetchEi@rel32@hi+12
	s_waitcnt vmcnt(0)
	v_mov_b32_e32 v0, s4
	v_mov_b32_e32 v1, s5
	;; [unrolled: 1-line block ×7, first 2 shown]
	s_getpc_b64 s[10:11]
	s_add_u32 s10, s10, __assert_fail@rel32@lo+4
	s_addc_u32 s11, s11, __assert_fail@rel32@hi+12
	s_mov_b64 s[8:9], s[52:53]
	s_swappc_b64 s[30:31], s[10:11]
	s_or_b32 s64, s64, exec_lo
.LBB6_2908:
	s_or_b32 exec_lo, exec_lo, s21
	s_andn2_b32 s4, s54, exec_lo
	s_and_b32 s5, s64, exec_lo
	s_or_b32 s54, s4, s5
	s_or_b32 exec_lo, exec_lo, s55
	s_and_saveexec_b32 s4, s54
	s_cbranch_execnz .LBB6_3
	s_branch .LBB6_4
.Lfunc_end6:
	.size	_ZN3sop12sopFactorRecEPNS_3SopEiP7VecsMemIjLi8192EEPN8subgUtil4SubgILi256EEE, .Lfunc_end6-_ZN3sop12sopFactorRecEPNS_3SopEiP7VecsMemIjLi8192EEPN8subgUtil4SubgILi256EEE
                                        ; -- End function
	.set .L_ZN3sop12sopFactorRecEPNS_3SopEiP7VecsMemIjLi8192EEPN8subgUtil4SubgILi256EEE.num_vgpr, max(72, .L__assert_fail.num_vgpr, .L_ZN3sop23sopFactorTrivialCubeRecEjiiPN8subgUtil4SubgILi256EEE.num_vgpr, .L_ZN3sop19sopFactorTrivialRecEPjiiPN8subgUtil4SubgILi256EEE.num_vgpr)
	.set .L_ZN3sop12sopFactorRecEPNS_3SopEiP7VecsMemIjLi8192EEPN8subgUtil4SubgILi256EEE.num_agpr, max(0, .L__assert_fail.num_agpr, .L_ZN3sop23sopFactorTrivialCubeRecEjiiPN8subgUtil4SubgILi256EEE.num_agpr, .L_ZN3sop19sopFactorTrivialRecEPjiiPN8subgUtil4SubgILi256EEE.num_agpr)
	.set .L_ZN3sop12sopFactorRecEPNS_3SopEiP7VecsMemIjLi8192EEPN8subgUtil4SubgILi256EEE.numbered_sgpr, max(82, .L__assert_fail.numbered_sgpr, .L_ZN3sop23sopFactorTrivialCubeRecEjiiPN8subgUtil4SubgILi256EEE.numbered_sgpr, .L_ZN3sop19sopFactorTrivialRecEPjiiPN8subgUtil4SubgILi256EEE.numbered_sgpr)
	.set .L_ZN3sop12sopFactorRecEPNS_3SopEiP7VecsMemIjLi8192EEPN8subgUtil4SubgILi256EEE.num_named_barrier, max(0, .L__assert_fail.num_named_barrier, .L_ZN3sop23sopFactorTrivialCubeRecEjiiPN8subgUtil4SubgILi256EEE.num_named_barrier, .L_ZN3sop19sopFactorTrivialRecEPjiiPN8subgUtil4SubgILi256EEE.num_named_barrier)
	.set .L_ZN3sop12sopFactorRecEPNS_3SopEiP7VecsMemIjLi8192EEPN8subgUtil4SubgILi256EEE.private_seg_size, 176+max(.L__assert_fail.private_seg_size, .L_ZN3sop23sopFactorTrivialCubeRecEjiiPN8subgUtil4SubgILi256EEE.private_seg_size, .L_ZN3sop19sopFactorTrivialRecEPjiiPN8subgUtil4SubgILi256EEE.private_seg_size)
	.set .L_ZN3sop12sopFactorRecEPNS_3SopEiP7VecsMemIjLi8192EEPN8subgUtil4SubgILi256EEE.uses_vcc, or(1, .L__assert_fail.uses_vcc, .L_ZN3sop23sopFactorTrivialCubeRecEjiiPN8subgUtil4SubgILi256EEE.uses_vcc, .L_ZN3sop19sopFactorTrivialRecEPjiiPN8subgUtil4SubgILi256EEE.uses_vcc)
	.set .L_ZN3sop12sopFactorRecEPNS_3SopEiP7VecsMemIjLi8192EEPN8subgUtil4SubgILi256EEE.uses_flat_scratch, or(0, .L__assert_fail.uses_flat_scratch, .L_ZN3sop23sopFactorTrivialCubeRecEjiiPN8subgUtil4SubgILi256EEE.uses_flat_scratch, .L_ZN3sop19sopFactorTrivialRecEPjiiPN8subgUtil4SubgILi256EEE.uses_flat_scratch)
	.set .L_ZN3sop12sopFactorRecEPNS_3SopEiP7VecsMemIjLi8192EEPN8subgUtil4SubgILi256EEE.has_dyn_sized_stack, or(0, .L__assert_fail.has_dyn_sized_stack, .L_ZN3sop23sopFactorTrivialCubeRecEjiiPN8subgUtil4SubgILi256EEE.has_dyn_sized_stack, .L_ZN3sop19sopFactorTrivialRecEPjiiPN8subgUtil4SubgILi256EEE.has_dyn_sized_stack)
	.set .L_ZN3sop12sopFactorRecEPNS_3SopEiP7VecsMemIjLi8192EEPN8subgUtil4SubgILi256EEE.has_recursion, or(1, .L__assert_fail.has_recursion, .L_ZN3sop23sopFactorTrivialCubeRecEjiiPN8subgUtil4SubgILi256EEE.has_recursion, .L_ZN3sop19sopFactorTrivialRecEPjiiPN8subgUtil4SubgILi256EEE.has_recursion)
	.set .L_ZN3sop12sopFactorRecEPNS_3SopEiP7VecsMemIjLi8192EEPN8subgUtil4SubgILi256EEE.has_indirect_call, or(0, .L__assert_fail.has_indirect_call, .L_ZN3sop23sopFactorTrivialCubeRecEjiiPN8subgUtil4SubgILi256EEE.has_indirect_call, .L_ZN3sop19sopFactorTrivialRecEPjiiPN8subgUtil4SubgILi256EEE.has_indirect_call)
	.section	.AMDGPU.csdata,"",@progbits
; Function info:
; codeLenInByte = 108984
; TotalNumSgprs: 84
; NumVgprs: 72
; ScratchSize: 320
; MemoryBound: 0
	.text
	.protected	_Z8resynCutPKiS0_S0_S0_PKyPKjiS0_PyPiS6_S6_PjS0_S4_ii ; -- Begin function _Z8resynCutPKiS0_S0_S0_PKyPKjiS0_PyPiS6_S6_PjS0_S4_ii
	.globl	_Z8resynCutPKiS0_S0_S0_PKyPKjiS0_PyPiS6_S6_PjS0_S4_ii
	.p2align	8
	.type	_Z8resynCutPKiS0_S0_S0_PKyPKjiS0_PyPiS6_S6_PjS0_S4_ii,@function
_Z8resynCutPKiS0_S0_S0_PKyPKjiS0_PyPiS6_S6_PjS0_S4_ii: ; @_Z8resynCutPKiS0_S0_S0_PKyPKjiS0_PyPiS6_S6_PjS0_S4_ii
; %bb.0:
	s_add_u32 s6, s6, s9
	s_mov_b32 s32, 0x140e00
	s_addc_u32 s7, s7, 0
	s_setreg_b32 hwreg(HW_REG_FLAT_SCR_LO), s6
	s_setreg_b32 hwreg(HW_REG_FLAT_SCR_HI), s7
	s_add_u32 s0, s0, s9
	s_clause 0x1
	s_load_dword s6, s[4:5], 0x8c
	s_load_dword s9, s[4:5], 0x7c
	s_mov_b64 s[54:55], s[4:5]
	s_addc_u32 s1, s1, 0
	s_add_u32 s10, s54, 0x80
	s_addc_u32 s11, s55, 0
	v_mov_b32_e32 v61, 0
                                        ; implicit-def: $vgpr78 : SGPR spill to VGPR lane
	v_mov_b32_e32 v43, 0x1024
	v_writelane_b32 v78, s10, 0
	s_mov_b32 s5, -1
	s_mov_b32 s4, 0
	s_mov_b32 s51, 0
	;; [unrolled: 1-line block ×10, first 2 shown]
	s_waitcnt lgkmcnt(0)
	s_and_b32 s6, s6, 0xffff
	s_mov_b32 s42, 0
	v_mad_u64_u32 v[62:63], null, s8, s6, v[0:1]
	v_mov_b32_e32 v0, 0x9058
	s_mov_b32 s41, 0
	s_mov_b32 s40, 0
	;; [unrolled: 1-line block ×4, first 2 shown]
	buffer_store_dword v61, v0, s[0:3], 0 offen
	v_mov_b32_e32 v0, 0x9058
	s_mov_b32 s37, 0
	s_mov_b32 s36, 0
	;; [unrolled: 1-line block ×13, first 2 shown]
	s_mov_b32 s52, exec_lo
	v_writelane_b32 v78, s11, 1
	buffer_store_dword v61, v43, s[0:3], 0 offen offset:44
	buffer_store_dword v61, v0, s[0:3], 0 offen offset:2056
	v_cmpx_gt_i32_e64 s9, v62
	s_cbranch_execz .LBB7_319
; %bb.1:
	s_load_dwordx8 s[12:19], s[54:55], 0x0
	v_writelane_b32 v78, s52, 2
	s_mov_b64 s[4:5], src_private_base
	s_load_dwordx2 s[10:11], s[54:55], 0x68
                                        ; implicit-def: $vgpr77 : SGPR spill to VGPR lane
	v_mov_b32_e32 v44, 0x9060
	v_mov_b32_e32 v45, 1
	v_writelane_b32 v78, s4, 3
	v_mov_b32_e32 v46, 3
                                        ; implicit-def: $sgpr103
                                        ; implicit-def: $sgpr102
                                        ; implicit-def: $sgpr101
                                        ; implicit-def: $sgpr100
                                        ; implicit-def: $sgpr99
                                        ; implicit-def: $sgpr98
                                        ; implicit-def: $sgpr97
                                        ; implicit-def: $sgpr96
                                        ; implicit-def: $sgpr87
                                        ; implicit-def: $sgpr86
                                        ; implicit-def: $sgpr85
                                        ; implicit-def: $sgpr46
                                        ; implicit-def: $sgpr83
                                        ; implicit-def: $sgpr84
                                        ; implicit-def: $vgpr47
                                        ; implicit-def: $vgpr56
	s_load_dword s8, s[54:55], 0x30
	v_writelane_b32 v78, s5, 4
	s_waitcnt lgkmcnt(0)
	v_writelane_b32 v78, s12, 5
	v_writelane_b32 v78, s13, 6
	;; [unrolled: 1-line block ×8, first 2 shown]
	s_load_dwordx4 s[12:15], s[54:55], 0x20
	s_waitcnt lgkmcnt(0)
	v_writelane_b32 v78, s12, 13
	v_writelane_b32 v78, s13, 14
	;; [unrolled: 1-line block ×4, first 2 shown]
	v_readlane_b32 s4, v78, 0
	v_readlane_b32 s5, v78, 1
	s_load_dword s4, s[4:5], 0x0
	s_load_dwordx8 s[12:19], s[54:55], 0x38
	s_movk_i32 s5, 0x1054
	s_waitcnt lgkmcnt(0)
	s_mul_i32 s4, s4, s6
	v_writelane_b32 v78, s12, 17
	v_writelane_b32 v78, s13, 18
	;; [unrolled: 1-line block ×8, first 2 shown]
	s_load_dwordx4 s[12:15], s[54:55], 0x58
	v_writelane_b32 v78, s10, 25
	v_writelane_b32 v78, s11, 26
	s_mov_b32 s10, 0
	s_mov_b32 s11, 2
	;; [unrolled: 1-line block ×3, first 2 shown]
	s_waitcnt lgkmcnt(0)
	v_writelane_b32 v78, s12, 27
	v_writelane_b32 v78, s13, 28
	;; [unrolled: 1-line block ×5, first 2 shown]
	s_mov_b32 s5, 0x9868
	v_writelane_b32 v77, s5, 0
	s_lshl_b32 s5, s9, 1
	s_add_i32 s5, s5, -1
	v_writelane_b32 v77, s9, 1
	s_ashr_i32 s9, s8, 31
	v_writelane_b32 v77, s5, 2
	v_writelane_b32 v77, s8, 3
	;; [unrolled: 1-line block ×4, first 2 shown]
                                        ; implicit-def: $sgpr4
                                        ; kill: killed $sgpr4
                                        ; implicit-def: $sgpr4
                                        ; kill: killed $sgpr4
	;; [unrolled: 2-line block ×10, first 2 shown]
                                        ; implicit-def: $sgpr4
	v_writelane_b32 v77, s54, 6
                                        ; kill: killed $sgpr4
                                        ; implicit-def: $sgpr4
                                        ; kill: killed $sgpr4
                                        ; implicit-def: $sgpr4
	;; [unrolled: 2-line block ×5, first 2 shown]
                                        ; kill: killed $sgpr4
	v_writelane_b32 v77, s55, 7
	s_branch .LBB7_15
.LBB7_2:                                ;   in Loop: Header=BB7_15 Depth=1
	s_or_b32 exec_lo, exec_lo, s45
	s_andn2_b32 s27, s27, exec_lo
	s_and_b32 s42, s42, exec_lo
	s_andn2_b32 s24, s24, exec_lo
	s_and_b32 s37, s37, exec_lo
	s_andn2_b32 s5, s5, exec_lo
	s_and_b32 s36, s36, exec_lo
	s_andn2_b32 s25, s25, exec_lo
	s_and_b32 s35, s35, exec_lo
	s_andn2_b32 s26, s26, exec_lo
	s_and_b32 s34, s34, exec_lo
	s_andn2_b32 s22, s22, exec_lo
	s_and_b32 s33, s33, exec_lo
	s_andn2_b32 s23, s23, exec_lo
	s_and_b32 s31, s31, exec_lo
	s_andn2_b32 s20, s20, exec_lo
	s_and_b32 s30, s30, exec_lo
	s_andn2_b32 s21, s21, exec_lo
	s_and_b32 s29, s29, exec_lo
	s_andn2_b32 s6, s6, exec_lo
	s_and_b32 s28, s28, exec_lo
	s_andn2_b32 s19, s19, exec_lo
	s_and_b32 s4, s4, exec_lo
	s_or_b32 s27, s27, s42
	s_and_b32 s42, s44, exec_lo
	s_and_b32 s41, s41, exec_lo
	;; [unrolled: 1-line block ×5, first 2 shown]
	s_or_b32 s24, s24, s37
	s_or_b32 s5, s5, s36
	;; [unrolled: 1-line block ×10, first 2 shown]
	s_orn2_b32 s28, s17, exec_lo
.LBB7_3:                                ;   in Loop: Header=BB7_15 Depth=1
	s_or_b32 exec_lo, exec_lo, s18
	s_andn2_b32 s4, s15, exec_lo
	s_and_b32 s15, s27, exec_lo
	s_and_b32 s17, s24, exec_lo
	s_or_b32 s15, s4, s15
	s_and_b32 s4, s5, exec_lo
	s_andn2_b32 s5, s14, exec_lo
	s_and_b32 s14, s25, exec_lo
	s_andn2_b32 s13, s13, exec_lo
	s_or_b32 s14, s5, s14
	s_andn2_b32 s5, s10, exec_lo
	s_and_b32 s10, s22, exec_lo
	s_and_b32 s24, s26, exec_lo
	s_or_b32 s10, s5, s10
	s_andn2_b32 s5, s11, exec_lo
	s_and_b32 s11, s20, exec_lo
	s_andn2_b32 s7, s7, exec_lo
	s_and_b32 s22, s23, exec_lo
	;; [unrolled: 2-line block ×3, first 2 shown]
	s_or_b32 s11, s5, s11
	s_andn2_b32 s5, s8, exec_lo
	s_and_b32 s6, s6, exec_lo
	s_andn2_b32 s9, s9, exec_lo
	s_and_b32 s19, s19, exec_lo
	s_and_b32 s31, s42, exec_lo
	s_and_b32 s30, s41, exec_lo
	s_and_b32 s29, s40, exec_lo
	s_and_b32 s27, s39, exec_lo
	s_and_b32 s18, s38, exec_lo
	s_or_b32 s13, s13, s24
	s_or_b32 s7, s7, s22
	;; [unrolled: 1-line block ×5, first 2 shown]
	s_orn2_b32 s5, s28, exec_lo
.LBB7_4:                                ;   in Loop: Header=BB7_15 Depth=1
	s_or_b32 exec_lo, exec_lo, s16
	s_andn2_b32 s6, s53, exec_lo
	s_and_b32 s15, s15, exec_lo
	s_and_b32 s12, s12, exec_lo
	s_or_b32 s53, s6, s15
	s_and_b32 s15, s4, exec_lo
	s_and_b32 s6, s10, exec_lo
	;; [unrolled: 1-line block ×3, first 2 shown]
	s_andn2_b32 s7, s49, exec_lo
	s_and_b32 s10, s11, exec_lo
	s_andn2_b32 s11, s51, exec_lo
	s_or_b32 s49, s7, s10
	s_andn2_b32 s7, s52, exec_lo
	s_and_b32 s8, s8, exec_lo
	s_andn2_b32 s10, s50, exec_lo
	s_and_b32 s9, s9, exec_lo
	s_and_b32 s22, s31, exec_lo
	;; [unrolled: 1-line block ×9, first 2 shown]
	s_or_b32 s51, s11, s12
	s_or_b32 s52, s7, s8
	;; [unrolled: 1-line block ×3, first 2 shown]
	s_orn2_b32 s5, s5, exec_lo
.LBB7_5:                                ;   in Loop: Header=BB7_15 Depth=1
	s_or_b32 exec_lo, exec_lo, s64
	s_orn2_b32 s25, s53, exec_lo
	s_and_b32 s24, s22, exec_lo
	s_and_b32 s23, s21, exec_lo
	;; [unrolled: 1-line block ×15, first 2 shown]
	s_orn2_b32 s5, s5, exec_lo
.LBB7_6:                                ;   in Loop: Header=BB7_15 Depth=1
	s_or_b32 exec_lo, exec_lo, s48
	s_and_b32 s25, s25, exec_lo
	s_and_b32 s21, s24, exec_lo
	;; [unrolled: 1-line block ×16, first 2 shown]
	s_xor_b32 s7, exec_lo, -1
	s_orn2_b32 s5, s5, exec_lo
.LBB7_7:                                ;   in Loop: Header=BB7_15 Depth=1
	v_readlane_b32 s18, v76, 14
	s_or_b32 exec_lo, exec_lo, s18
	s_and_b32 s18, s17, exec_lo
	s_and_b32 s17, s16, exec_lo
	;; [unrolled: 1-line block ×13, first 2 shown]
	v_readlane_b32 s7, v76, 9
	s_and_b32 s22, s25, exec_lo
	s_and_b32 s20, s24, exec_lo
	v_readlane_b32 s24, v76, 11
	v_readlane_b32 s25, v76, 13
	s_andn2_b32 s7, s7, exec_lo
	s_and_b32 s19, s23, exec_lo
	v_writelane_b32 v76, s7, 9
	s_and_b32 s21, s21, exec_lo
	s_andn2_b32 s24, s24, exec_lo
	s_andn2_b32 s25, s25, exec_lo
	s_orn2_b32 s5, s5, exec_lo
	v_readlane_b32 s7, v76, 8
	s_andn2_b32 s7, s7, exec_lo
	v_writelane_b32 v76, s7, 8
	v_readlane_b32 s23, v76, 12
	v_readlane_b32 s7, v76, 7
	s_andn2_b32 s23, s23, exec_lo
	s_andn2_b32 s7, s7, exec_lo
	v_writelane_b32 v76, s7, 7
.LBB7_8:                                ;   in Loop: Header=BB7_15 Depth=1
	v_readlane_b32 s7, v76, 10
	s_or_b32 exec_lo, exec_lo, s7
	s_mov_b32 s7, s24
	s_and_b32 s24, s22, exec_lo
	s_mov_b32 s28, s23
	s_and_b32 s23, s21, exec_lo
	s_and_b32 s22, s20, exec_lo
	;; [unrolled: 1-line block ×17, first 2 shown]
	v_readlane_b32 s6, v76, 4
	v_readlane_b32 s25, v76, 9
	;; [unrolled: 1-line block ×4, first 2 shown]
	s_and_b32 s7, s7, exec_lo
	s_andn2_b32 s6, s6, exec_lo
	s_and_b32 s25, s25, exec_lo
	s_andn2_b32 s26, s26, exec_lo
	s_or_b32 s6, s6, s25
	s_and_b32 s27, s27, exec_lo
	v_writelane_b32 v76, s6, 4
	s_or_b32 s6, s26, s27
	s_and_b32 s25, s28, exec_lo
	v_writelane_b32 v76, s6, 3
	v_readlane_b32 s6, v76, 2
	v_readlane_b32 s26, v76, 1
	;; [unrolled: 1-line block ×3, first 2 shown]
	s_andn2_b32 s6, s6, exec_lo
	s_andn2_b32 s26, s26, exec_lo
	s_or_b32 s6, s6, s25
	s_and_b32 s27, s27, exec_lo
	v_writelane_b32 v76, s6, 2
	s_or_b32 s6, s26, s27
	v_writelane_b32 v76, s6, 1
	s_orn2_b32 s6, s5, exec_lo
.LBB7_9:                                ;   in Loop: Header=BB7_15 Depth=1
	v_readlane_b32 s5, v76, 5
	s_or_b32 exec_lo, exec_lo, s5
	s_and_b32 s25, s21, exec_lo
	s_and_b32 s21, s18, exec_lo
	s_and_b32 s18, s15, exec_lo
	s_and_b32 s15, s12, exec_lo
	s_and_b32 s12, s9, exec_lo
	s_and_b32 s9, s4, exec_lo
	v_readlane_b32 s4, v76, 4
	s_and_b32 s28, s24, exec_lo
	s_and_b32 s24, s20, exec_lo
	s_and_b32 s20, s17, exec_lo
	s_and_b32 s17, s14, exec_lo
	s_and_b32 s14, s11, exec_lo
	s_and_b32 s11, s8, exec_lo
	s_and_b32 s8, s4, exec_lo
	v_readlane_b32 s4, v76, 3
	s_and_b32 s27, s23, exec_lo
	;; [unrolled: 8-line block ×3, first 2 shown]
	s_and_b32 s5, s4, exec_lo
	v_readlane_b32 s4, v76, 1
	s_orn2_b32 s22, s4, exec_lo
	s_orn2_b32 s4, s6, exec_lo
.LBB7_10:                               ;   in Loop: Header=BB7_15 Depth=1
	v_readlane_b32 s6, v76, 0
	s_or_b32 exec_lo, exec_lo, s6
	s_and_b32 s6, s5, exec_lo
	s_and_b32 s5, s22, exec_lo
	v_readlane_b32 s22, v77, 27
	s_and_b32 s28, s28, exec_lo
	s_and_b32 s27, s27, exec_lo
	;; [unrolled: 1-line block ×4, first 2 shown]
	s_andn2_b32 s22, s22, exec_lo
	s_and_b32 s24, s24, exec_lo
	v_writelane_b32 v77, s22, 27
	s_and_b32 s23, s23, exec_lo
	s_and_b32 s21, s21, exec_lo
	;; [unrolled: 1-line block ×4, first 2 shown]
	v_readlane_b32 s22, v77, 28
	s_and_b32 s18, s18, exec_lo
	s_and_b32 s17, s17, exec_lo
	;; [unrolled: 1-line block ×4, first 2 shown]
	s_andn2_b32 s22, s22, exec_lo
	s_and_b32 s14, s14, exec_lo
	v_writelane_b32 v77, s22, 28
	s_and_b32 s13, s13, exec_lo
	s_and_b32 s12, s12, exec_lo
	;; [unrolled: 1-line block ×4, first 2 shown]
	v_readlane_b32 s22, v77, 29
	s_and_b32 s9, s9, exec_lo
	s_and_b32 s8, s8, exec_lo
	;; [unrolled: 1-line block ×3, first 2 shown]
	s_orn2_b32 s4, s4, exec_lo
	s_andn2_b32 s22, s22, exec_lo
	v_writelane_b32 v77, s22, 29
	v_readlane_b32 s22, v77, 30
	s_andn2_b32 s22, s22, exec_lo
	v_writelane_b32 v77, s22, 30
	v_readlane_b32 s29, v77, 31
.LBB7_11:                               ;   in Loop: Header=BB7_15 Depth=1
	s_or_b32 exec_lo, exec_lo, s29
	s_and_b32 s31, s28, exec_lo
	s_and_b32 s28, s25, exec_lo
	s_and_b32 s25, s21, exec_lo
	s_and_b32 s21, s17, exec_lo
	s_and_b32 s17, s13, exec_lo
	s_and_b32 s13, s9, exec_lo
	s_and_b32 s9, s5, exec_lo
	v_readlane_b32 s5, v77, 27
	s_and_b32 s30, s27, exec_lo
	s_and_b32 s27, s24, exec_lo
	s_and_b32 s24, s20, exec_lo
	s_and_b32 s20, s16, exec_lo
	s_and_b32 s16, s12, exec_lo
	s_and_b32 s12, s8, exec_lo
	s_and_b32 s8, s5, exec_lo
	v_readlane_b32 s5, v77, 28
	;; [unrolled: 8-line block ×3, first 2 shown]
	s_and_b32 s22, s18, exec_lo
	s_and_b32 s18, s14, exec_lo
	;; [unrolled: 1-line block ×5, first 2 shown]
	v_readlane_b32 s5, v77, 30
	s_orn2_b32 s4, s4, exec_lo
	s_and_b32 s5, s5, exec_lo
.LBB7_12:                               ;   in Loop: Header=BB7_15 Depth=1
	s_or_b32 exec_lo, exec_lo, s47
	s_and_b32 s33, s31, exec_lo
	s_and_b32 s31, s30, exec_lo
	s_and_b32 s30, s29, exec_lo
	s_and_b32 s29, s28, exec_lo
	s_and_b32 s28, s27, exec_lo
	s_and_b32 s27, s26, exec_lo
	s_and_b32 s26, s25, exec_lo
	s_and_b32 s25, s24, exec_lo
	s_and_b32 s24, s23, exec_lo
	s_and_b32 s23, s22, exec_lo
	s_and_b32 s22, s21, exec_lo
	s_and_b32 s21, s20, exec_lo
	s_and_b32 s20, s19, exec_lo
	s_and_b32 s19, s18, exec_lo
	s_and_b32 s18, s17, exec_lo
	s_and_b32 s17, s16, exec_lo
	s_and_b32 s16, s15, exec_lo
	s_and_b32 s15, s14, exec_lo
	s_and_b32 s14, s13, exec_lo
	s_and_b32 s13, s12, exec_lo
	s_and_b32 s12, s11, exec_lo
	s_and_b32 s11, s10, exec_lo
	s_and_b32 s10, s9, exec_lo
	s_and_b32 s9, s8, exec_lo
	s_and_b32 s8, s7, exec_lo
	s_and_b32 s7, s6, exec_lo
	s_and_b32 s5, s5, exec_lo
	s_xor_b32 s6, exec_lo, -1
	s_orn2_b32 s4, s4, exec_lo
.LBB7_13:                               ;   in Loop: Header=BB7_15 Depth=1
	v_readlane_b32 s34, v77, 9
	s_or_b32 exec_lo, exec_lo, s34
	v_readlane_b32 s35, v77, 8
	s_andn2_b32 s34, s84, exec_lo
	s_and_b32 s33, s33, exec_lo
	s_orn2_b32 s4, s4, exec_lo
	s_or_b32 s84, s34, s33
	s_and_b32 s33, s31, exec_lo
	s_and_b32 s31, s30, exec_lo
	;; [unrolled: 1-line block ×27, first 2 shown]
	s_xor_b32 s6, exec_lo, -1
.LBB7_14:                               ;   in Loop: Header=BB7_15 Depth=1
	s_or_b32 exec_lo, exec_lo, s35
	s_xor_b32 s33, s33, -1
	s_xor_b32 s31, s31, -1
	;; [unrolled: 1-line block ×28, first 2 shown]
	s_and_b32 s4, exec_lo, s4
	s_or_b32 s104, s4, s104
	s_andn2_b32 s4, s83, exec_lo
	s_and_b32 s34, s84, exec_lo
	s_and_b32 s33, s33, exec_lo
	s_or_b32 s83, s4, s34
	v_readlane_b32 s34, v77, 10
	s_andn2_b32 s4, s46, exec_lo
	s_and_b32 s31, s31, exec_lo
	s_or_b32 s46, s4, s33
	s_and_b32 s30, s30, exec_lo
	s_andn2_b32 s34, s34, exec_lo
	s_and_b32 s29, s29, exec_lo
	s_or_b32 s4, s34, s31
	s_and_b32 s28, s28, exec_lo
	v_writelane_b32 v77, s4, 10
	s_and_b32 s27, s27, exec_lo
	s_and_b32 s26, s26, exec_lo
	;; [unrolled: 1-line block ×4, first 2 shown]
	v_readlane_b32 s4, v77, 11
	v_readlane_b32 s31, v77, 12
	s_and_b32 s23, s23, exec_lo
	s_and_b32 s22, s22, exec_lo
	;; [unrolled: 1-line block ×3, first 2 shown]
	s_andn2_b32 s4, s4, exec_lo
	s_andn2_b32 s31, s31, exec_lo
	s_or_b32 s4, s4, s30
	s_and_b32 s20, s20, exec_lo
	v_writelane_b32 v77, s4, 11
	s_or_b32 s4, s31, s29
	s_and_b32 s19, s19, exec_lo
	s_and_b32 s18, s18, exec_lo
	;; [unrolled: 1-line block ×3, first 2 shown]
	v_writelane_b32 v77, s4, 12
	s_and_b32 s16, s16, exec_lo
	s_and_b32 s15, s15, exec_lo
	;; [unrolled: 1-line block ×4, first 2 shown]
	v_readlane_b32 s4, v77, 13
	v_readlane_b32 s29, v77, 14
	s_and_b32 s12, s12, exec_lo
	s_and_b32 s11, s11, exec_lo
	;; [unrolled: 1-line block ×3, first 2 shown]
	s_andn2_b32 s4, s4, exec_lo
	s_andn2_b32 s29, s29, exec_lo
	s_or_b32 s4, s4, s28
	s_and_b32 s9, s9, exec_lo
	v_writelane_b32 v77, s4, 13
	s_or_b32 s4, s29, s27
	s_and_b32 s8, s8, exec_lo
	s_and_b32 s7, s7, exec_lo
	;; [unrolled: 1-line block ×3, first 2 shown]
	v_writelane_b32 v77, s4, 14
	s_and_b32 s6, s6, exec_lo
	v_readlane_b32 s4, v77, 15
	v_readlane_b32 s27, v77, 16
	s_andn2_b32 s4, s4, exec_lo
	s_andn2_b32 s27, s27, exec_lo
	s_or_b32 s4, s4, s26
	v_writelane_b32 v77, s4, 15
	s_or_b32 s4, s27, s25
	v_writelane_b32 v77, s4, 16
	v_readlane_b32 s4, v77, 17
	v_readlane_b32 s25, v77, 18
	s_andn2_b32 s4, s4, exec_lo
	s_andn2_b32 s25, s25, exec_lo
	s_or_b32 s4, s4, s24
	v_writelane_b32 v77, s4, 17
	s_or_b32 s4, s25, s23
	v_writelane_b32 v77, s4, 18
	;; [unrolled: 8-line block ×4, first 2 shown]
	v_readlane_b32 s4, v77, 23
	v_readlane_b32 s19, v77, 24
	s_andn2_b32 s4, s4, exec_lo
	s_andn2_b32 s19, s19, exec_lo
	s_or_b32 s4, s4, s18
	v_writelane_b32 v77, s4, 23
	s_or_b32 s4, s19, s17
	s_andn2_b32 s17, s85, exec_lo
	s_or_b32 s85, s17, s15
	v_writelane_b32 v77, s4, 24
	s_andn2_b32 s15, s87, exec_lo
	s_or_b32 s87, s15, s13
	s_andn2_b32 s13, s97, exec_lo
	v_readlane_b32 s4, v77, 25
	s_or_b32 s97, s13, s11
	s_andn2_b32 s11, s99, exec_lo
	s_or_b32 s99, s11, s9
	s_andn2_b32 s4, s4, exec_lo
	s_andn2_b32 s9, s101, exec_lo
	s_or_b32 s4, s4, s16
	s_or_b32 s101, s9, s7
	v_writelane_b32 v77, s4, 25
	s_andn2_b32 s4, s86, exec_lo
	s_andn2_b32 s7, s103, exec_lo
	s_or_b32 s86, s4, s14
	s_andn2_b32 s4, s96, exec_lo
	s_or_b32 s103, s7, s6
	s_or_b32 s96, s4, s12
	s_andn2_b32 s4, s98, exec_lo
	s_or_b32 s98, s4, s10
	s_andn2_b32 s4, s100, exec_lo
	;; [unrolled: 2-line block ×3, first 2 shown]
	s_or_b32 s102, s4, s5
	s_andn2_b32 exec_lo, exec_lo, s104
	s_cbranch_execz .LBB7_258
.LBB7_15:                               ; =>This Loop Header: Depth=1
                                        ;     Child Loop BB7_21 Depth 2
                                        ;     Child Loop BB7_39 Depth 2
	;; [unrolled: 1-line block ×6, first 2 shown]
                                        ;       Child Loop BB7_99 Depth 3
                                        ;     Child Loop BB7_120 Depth 2
                                        ;     Child Loop BB7_124 Depth 2
	;; [unrolled: 1-line block ×7, first 2 shown]
                                        ;       Child Loop BB7_203 Depth 3
                                        ;     Child Loop BB7_240 Depth 2
	v_ashrrev_i32_e32 v63, 31, v62
	v_readlane_b32 s4, v78, 5
	v_readlane_b32 s5, v78, 6
	;; [unrolled: 1-line block ×4, first 2 shown]
	v_lshlrev_b64 v[72:73], 2, v[62:63]
	v_readlane_b32 s10, v78, 11
	v_readlane_b32 s11, v78, 12
	;; [unrolled: 1-line block ×4, first 2 shown]
	v_add_co_u32 v0, vcc_lo, s4, v72
	v_add_co_ci_u32_e64 v1, null, s5, v73, vcc_lo
	s_mov_b32 s4, exec_lo
	global_load_dword v88, v[0:1], off
	s_waitcnt vmcnt(0)
	v_ashrrev_i32_e32 v89, 31, v88
	v_lshlrev_b64 v[0:1], 2, v[88:89]
	v_add_co_u32 v2, vcc_lo, s8, v0
	v_add_co_ci_u32_e64 v3, null, s9, v1, vcc_lo
	v_add_co_u32 v0, vcc_lo, s10, v0
	v_add_co_ci_u32_e64 v1, null, s11, v1, vcc_lo
	global_load_dword v40, v[2:3], off
	global_load_dword v57, v[0:1], off
	v_mov_b32_e32 v0, 0
	v_cmpx_ne_u32_e32 0, v62
	s_cbranch_execz .LBB7_17
; %bb.16:                               ;   in Loop: Header=BB7_15 Depth=1
	v_readlane_b32 s6, v78, 25
	v_readlane_b32 s7, v78, 26
	v_add_co_u32 v0, vcc_lo, s6, v72
	v_add_co_ci_u32_e64 v1, null, s7, v73, vcc_lo
	global_load_dword v0, v[0:1], off offset:-4
.LBB7_17:                               ;   in Loop: Header=BB7_15 Depth=1
	s_or_b32 exec_lo, exec_lo, s4
	v_readlane_b32 s4, v78, 25
	v_readlane_b32 s5, v78, 26
	s_andn2_b32 s84, s84, exec_lo
	s_mov_b32 s6, -1
	s_mov_b32 s7, 0
	v_add_co_u32 v1, vcc_lo, s4, v72
	v_add_co_ci_u32_e64 v2, null, s5, v73, vcc_lo
	s_waitcnt vmcnt(1)
	v_cmp_lt_i32_e32 vcc_lo, 5, v40
	s_mov_b32 s4, -1
	s_mov_b32 s5, 0
	global_load_dword v1, v[1:2], off
	v_add_nc_u32_e32 v2, -5, v40
	s_mov_b32 s8, 0
	s_mov_b32 s9, 0
	;; [unrolled: 1-line block ×4, first 2 shown]
	v_lshlrev_b32_e64 v2, v2, 1
	s_mov_b32 s12, 0
	s_mov_b32 s13, 0
	;; [unrolled: 1-line block ×4, first 2 shown]
	v_cndmask_b32_e32 v75, 1, v2, vcc_lo
	s_mov_b32 s16, 0
	s_mov_b32 s17, 0
	;; [unrolled: 1-line block ×17, first 2 shown]
	s_mov_b32 s35, exec_lo
	s_waitcnt vmcnt(0)
	v_sub_nc_u32_e32 v1, v1, v0
	v_cmpx_eq_u32_e64 v1, v75
	s_cbranch_execz .LBB7_14
; %bb.18:                               ;   in Loop: Header=BB7_15 Depth=1
	buffer_load_dword v1, v43, s[0:3], 0 offen offset:44
	v_writelane_b32 v77, s35, 8
	s_waitcnt vmcnt(0)
	v_cmp_lt_i32_e32 vcc_lo, -1, v1
	s_mov_b32 s34, exec_lo
	v_writelane_b32 v77, s34, 9
	s_and_b32 s34, s34, vcc_lo
	s_mov_b32 exec_lo, s34
	s_cbranch_execz .LBB7_13
; %bb.19:                               ;   in Loop: Header=BB7_15 Depth=1
	v_ashrrev_i32_e32 v1, 31, v0
	v_readlane_b32 s4, v78, 27
	v_readlane_b32 s6, v78, 29
	;; [unrolled: 1-line block ×3, first 2 shown]
	v_mov_b32_e32 v4, v40
	v_lshlrev_b64 v[91:92], 2, v[0:1]
	v_mov_b32_e32 v5, 0x1020
	v_mov_b32_e32 v7, 0x1050
	s_add_u32 s8, s54, 0x80
	s_addc_u32 s9, s55, 0
	v_readlane_b32 s5, v78, 28
	v_add_co_u32 v41, vcc_lo, s6, v91
	v_add_co_ci_u32_e64 v42, null, s7, v92, vcc_lo
	v_readlane_b32 s6, v78, 3
	v_readlane_b32 s7, v78, 4
	v_mov_b32_e32 v0, v41
	v_mov_b32_e32 v1, v42
	;; [unrolled: 1-line block ×6, first 2 shown]
	s_getpc_b64 s[4:5]
	s_add_u32 s4, s4, _ZN3sop13minatoIsopRecEPKjS1_iPNS_3SopEP7VecsMemIjLi8192EE@rel32@lo+4
	s_addc_u32 s5, s5, _ZN3sop13minatoIsopRecEPKjS1_iPNS_3SopEP7VecsMemIjLi8192EE@rel32@hi+12
	v_writelane_b32 v77, s46, 26
	buffer_store_dword v61, v43, s[0:3], 0 offen offset:44
	s_swappc_b64 s[30:31], s[4:5]
	v_mov_b32_e32 v60, v75
	s_mov_b32 s4, 0
                                        ; implicit-def: $sgpr33
                                        ; implicit-def: $sgpr6
                                        ; implicit-def: $sgpr5
	s_inst_prefetch 0x1
	s_branch .LBB7_21
	.p2align	6
.LBB7_20:                               ;   in Loop: Header=BB7_21 Depth=2
	s_or_b32 exec_lo, exec_lo, s7
	s_and_b32 s7, exec_lo, s6
	s_or_b32 s4, s7, s4
	s_andn2_b32 s7, s33, exec_lo
	s_and_b32 s8, s5, exec_lo
	s_or_b32 s33, s7, s8
	s_andn2_b32 exec_lo, exec_lo, s4
	s_cbranch_execz .LBB7_23
.LBB7_21:                               ;   Parent Loop BB7_15 Depth=1
                                        ; =>  This Inner Loop Header: Depth=2
	s_or_b32 s5, s5, exec_lo
	s_or_b32 s6, s6, exec_lo
	s_mov_b32 s7, exec_lo
	v_cmpx_lt_i32_e32 0, v60
	s_cbranch_execz .LBB7_20
; %bb.22:                               ;   in Loop: Header=BB7_21 Depth=2
	v_add_nc_u32_e32 v60, -1, v60
	s_andn2_b32 s6, s6, exec_lo
	s_andn2_b32 s5, s5, exec_lo
	v_lshlrev_b64 v[2:3], 2, v[60:61]
	v_add_co_u32 v4, vcc_lo, v41, v2
	v_add_co_ci_u32_e64 v5, null, v42, v3, vcc_lo
	v_add_co_u32 v2, vcc_lo, v0, v2
	v_add_co_ci_u32_e64 v3, null, v1, v3, vcc_lo
	global_load_dword v4, v[4:5], off
	flat_load_dword v2, v[2:3]
	s_waitcnt vmcnt(0) lgkmcnt(0)
	v_cmp_ne_u32_e32 vcc_lo, v4, v2
	s_and_b32 s8, vcc_lo, exec_lo
	s_or_b32 s6, s6, s8
	s_branch .LBB7_20
.LBB7_23:                               ;   in Loop: Header=BB7_15 Depth=1
	s_inst_prefetch 0x2
	s_or_b32 exec_lo, exec_lo, s4
	s_mov_b32 s4, -1
	s_mov_b32 s5, 0
	s_mov_b32 s6, 0
	;; [unrolled: 1-line block ×27, first 2 shown]
	s_and_saveexec_b32 s34, s33
	v_readlane_b32 s54, v77, 6
	v_readlane_b32 s55, v77, 7
	;; [unrolled: 1-line block ×3, first 2 shown]
	s_xor_b32 s47, exec_lo, s34
	s_cbranch_execz .LBB7_12
; %bb.24:                               ;   in Loop: Header=BB7_15 Depth=1
	buffer_load_dword v2, v43, s[0:3], 0 offen
	s_mov_b32 s4, 0
	s_mov_b32 s6, exec_lo
	s_waitcnt vmcnt(0)
	v_cmpx_lt_i32_e32 0, v2
	s_xor_b32 s6, exec_lo, s6
	s_cbranch_execz .LBB7_28
; %bb.25:                               ;   in Loop: Header=BB7_15 Depth=1
	s_mov_b32 s4, -1
	s_mov_b32 s5, exec_lo
	v_cmpx_eq_u32_e32 1, v2
	s_cbranch_execz .LBB7_27
; %bb.26:                               ;   in Loop: Header=BB7_15 Depth=1
	s_clause 0x1
	buffer_load_dword v0, v43, s[0:3], 0 offen offset:4
	buffer_load_dword v1, v43, s[0:3], 0 offen offset:8
	s_waitcnt vmcnt(0)
	flat_load_dword v0, v[0:1]
	s_waitcnt vmcnt(0) lgkmcnt(0)
	v_cmp_eq_u32_e32 vcc_lo, 0, v0
	v_cmp_ne_u32_e64 s4, 0, v0
	s_and_b32 s7, vcc_lo, exec_lo
	s_orn2_b32 s4, s4, exec_lo
.LBB7_27:                               ;   in Loop: Header=BB7_15 Depth=1
	s_or_b32 exec_lo, exec_lo, s5
	s_and_b32 s5, s7, exec_lo
	s_and_b32 s4, s4, exec_lo
.LBB7_28:                               ;   in Loop: Header=BB7_15 Depth=1
	s_andn2_saveexec_b32 s6, s6
; %bb.29:                               ;   in Loop: Header=BB7_15 Depth=1
	v_cmp_ne_u32_e32 vcc_lo, 0, v2
	s_andn2_b32 s4, s4, exec_lo
	s_or_b32 s5, s5, exec_lo
	s_and_b32 s7, vcc_lo, exec_lo
	s_or_b32 s4, s4, s7
; %bb.30:                               ;   in Loop: Header=BB7_15 Depth=1
	s_or_b32 exec_lo, exec_lo, s6
	s_mov_b32 s6, 0
	v_writelane_b32 v77, s6, 27
	v_writelane_b32 v77, s6, 30
	;; [unrolled: 1-line block ×4, first 2 shown]
	s_and_saveexec_b32 s6, s4
	s_cbranch_execz .LBB7_45
; %bb.31:                               ;   in Loop: Header=BB7_15 Depth=1
	v_mov_b32_e32 v3, -1
	s_mov_b32 s10, -1
	s_mov_b32 s4, 0
	s_mov_b32 s7, 0
	s_mov_b32 s8, exec_lo
	v_cmpx_lt_i32_e32 0, v2
	s_cbranch_execz .LBB7_35
; %bb.32:                               ;   in Loop: Header=BB7_15 Depth=1
	buffer_load_dword v1, v43, s[0:3], 0 offen offset:44
	v_mov_b32_e32 v3, -1
	s_mov_b32 s7, exec_lo
	s_waitcnt vmcnt(0)
	v_add_nc_u32_e32 v0, v1, v2
	v_cmpx_gt_i32_e32 0x2001, v0
	s_cbranch_execz .LBB7_34
; %bb.33:                               ;   in Loop: Header=BB7_15 Depth=1
	v_lshlrev_b32_e32 v1, 2, v1
	s_mov_b32 s9, exec_lo
	buffer_store_dword v0, v43, s[0:3], 0 offen offset:44
	v_add3_u32 v3, 0x1050, v1, 4
.LBB7_34:                               ;   in Loop: Header=BB7_15 Depth=1
	s_or_b32 exec_lo, exec_lo, s7
	s_mov_b32 s7, exec_lo
	s_orn2_b32 s10, s9, exec_lo
.LBB7_35:                               ;   in Loop: Header=BB7_15 Depth=1
	s_or_b32 exec_lo, exec_lo, s8
	s_mov_b32 s9, 0
	s_and_saveexec_b32 s8, s10
	s_cbranch_execz .LBB7_44
; %bb.36:                               ;   in Loop: Header=BB7_15 Depth=1
	s_mov_b32 s10, -1
	s_mov_b32 s9, exec_lo
	v_cmpx_ne_u32_e32 -1, v3
	s_cbranch_execz .LBB7_43
; %bb.37:                               ;   in Loop: Header=BB7_15 Depth=1
	s_mov_b32 s10, exec_lo
	v_cmpx_lt_i32_e32 0, v2
	s_cbranch_execz .LBB7_42
; %bb.38:                               ;   in Loop: Header=BB7_15 Depth=1
	s_clause 0x1
	buffer_load_dword v0, v43, s[0:3], 0 offen offset:4
	buffer_load_dword v1, v43, s[0:3], 0 offen offset:8
	v_mov_b32_e32 v4, v2
	v_mov_b32_e32 v5, v3
.LBB7_39:                               ;   Parent Loop BB7_15 Depth=1
                                        ; =>  This Inner Loop Header: Depth=2
	s_waitcnt vmcnt(0)
	flat_load_dword v6, v[0:1]
	v_add_nc_u32_e32 v4, -1, v4
	v_add_co_u32 v0, vcc_lo, v0, 4
	v_add_co_ci_u32_e64 v1, null, 0, v1, vcc_lo
	v_cmp_eq_u32_e64 s4, 0, v4
	s_or_b32 s11, s4, s11
	s_waitcnt vmcnt(0) lgkmcnt(0)
	buffer_store_dword v6, v5, s[0:3], 0 offen
	v_add_nc_u32_e32 v5, 4, v5
	s_andn2_b32 exec_lo, exec_lo, s11
	s_cbranch_execnz .LBB7_39
; %bb.40:                               ;   in Loop: Header=BB7_15 Depth=1
	s_or_b32 exec_lo, exec_lo, s11
	v_mov_b32_e32 v0, v2
	v_readlane_b32 s11, v78, 31
	s_mov_b32 s4, 0
.LBB7_41:                               ;   Parent Loop BB7_15 Depth=1
                                        ; =>  This Inner Loop Header: Depth=2
	buffer_load_dword v1, v3, s[0:3], 0 offen
	v_add_nc_u32_e32 v0, -1, v0
	v_mov_b32_e32 v4, s11
	v_add_nc_u32_e32 v3, 4, v3
	s_add_i32 s11, s11, 4
	v_cmp_eq_u32_e32 vcc_lo, 0, v0
	s_or_b32 s4, vcc_lo, s4
	s_waitcnt vmcnt(0)
	buffer_store_dword v1, v4, s[0:3], 0 offen
	s_andn2_b32 exec_lo, exec_lo, s4
	s_cbranch_execnz .LBB7_41
.LBB7_42:                               ;   in Loop: Header=BB7_15 Depth=1
	s_or_b32 exec_lo, exec_lo, s10
	buffer_load_dword v0, v43, s[0:3], 0 offen offset:44
	s_mov_b32 s11, exec_lo
	s_xor_b32 s10, exec_lo, -1
	s_waitcnt vmcnt(0)
	v_cmp_ge_i32_e32 vcc_lo, v0, v2
	s_and_b32 s4, vcc_lo, exec_lo
.LBB7_43:                               ;   in Loop: Header=BB7_15 Depth=1
	s_or_b32 exec_lo, exec_lo, s9
	s_and_b32 s11, s11, exec_lo
	s_and_b32 s9, s10, exec_lo
	s_andn2_b32 s7, s7, exec_lo
	s_and_b32 s4, s4, exec_lo
.LBB7_44:                               ;   in Loop: Header=BB7_15 Depth=1
	s_or_b32 exec_lo, exec_lo, s8
	s_and_b32 s8, s11, exec_lo
	s_and_b32 s7, s7, exec_lo
	v_writelane_b32 v77, s8, 28
	s_and_b32 s8, s9, exec_lo
	s_and_b32 s22, s4, exec_lo
	s_andn2_b32 s5, s5, exec_lo
	v_writelane_b32 v77, s8, 29
	v_writelane_b32 v77, s7, 30
.LBB7_45:                               ;   in Loop: Header=BB7_15 Depth=1
	s_or_b32 exec_lo, exec_lo, s6
	s_and_saveexec_b32 s4, s5
	s_cbranch_execz .LBB7_47
; %bb.46:                               ;   in Loop: Header=BB7_15 Depth=1
	buffer_load_dword v0, v43, s[0:3], 0 offen offset:44
	s_mov_b32 s5, exec_lo
	buffer_store_dword v61, v43, s[0:3], 0 offen offset:48
	v_writelane_b32 v77, s5, 27
	v_readlane_b32 s5, v77, 28
	s_andn2_b32 s5, s5, exec_lo
	v_writelane_b32 v77, s5, 28
	v_readlane_b32 s5, v77, 29
	s_andn2_b32 s5, s5, exec_lo
	v_writelane_b32 v77, s5, 29
	s_andn2_b32 s5, s22, exec_lo
	v_readlane_b32 s7, v77, 30
	s_andn2_b32 s7, s7, exec_lo
	v_writelane_b32 v77, s7, 30
	s_waitcnt vmcnt(0)
	v_cmp_ge_i32_e32 vcc_lo, v0, v2
	s_and_b32 s6, vcc_lo, exec_lo
	s_or_b32 s22, s5, s6
.LBB7_47:                               ;   in Loop: Header=BB7_15 Depth=1
	s_or_b32 exec_lo, exec_lo, s4
	s_mov_b32 s4, -1
	s_mov_b32 s5, 0
	s_mov_b32 s6, 0
	;; [unrolled: 1-line block ×23, first 2 shown]
	s_and_saveexec_b32 s29, s22
	s_cbranch_execz .LBB7_11
; %bb.48:                               ;   in Loop: Header=BB7_15 Depth=1
	s_mov_b32 s22, -1
	v_writelane_b32 v77, s29, 31
	v_cmp_gt_i32_e32 vcc_lo, 16, v40
	buffer_store_dword v2, v43, s[0:3], 0 offen offset:44
	s_mov_b32 s6, exec_lo
                                        ; implicit-def: $vgpr76 : SGPR spill to VGPR lane
	v_writelane_b32 v76, s6, 0
	s_and_b32 s6, s6, vcc_lo
	s_mov_b32 exec_lo, s6
	s_cbranch_execz .LBB7_10
; %bb.49:                               ;   in Loop: Header=BB7_15 Depth=1
	v_mov_b32_e32 v0, 0x9058
	s_mov_b32 s4, 0
	s_mov_b32 s82, 0
	s_mov_b32 s5, exec_lo
                                        ; implicit-def: $vgpr6
	buffer_store_dword v40, v0, s[0:3], 0 offen
	v_cmpx_lt_i32_e32 0, v2
	s_xor_b32 s5, exec_lo, s5
	s_cbranch_execz .LBB7_55
; %bb.50:                               ;   in Loop: Header=BB7_15 Depth=1
	s_mov_b32 s4, -1
	s_mov_b32 s6, exec_lo
                                        ; implicit-def: $vgpr6
	v_cmpx_eq_u32_e32 1, v2
	s_cbranch_execz .LBB7_54
; %bb.51:                               ;   in Loop: Header=BB7_15 Depth=1
	buffer_load_dword v0, v43, s[0:3], 0 offen offset:48
                                        ; implicit-def: $vgpr6
	s_waitcnt vmcnt(0)
	v_cmp_eq_u32_e64 s4, 0, v0
	v_cmp_ne_u32_e32 vcc_lo, 0, v0
	s_and_saveexec_b32 s8, s4
	s_xor_b32 s4, exec_lo, s8
	s_cbranch_execz .LBB7_53
; %bb.52:                               ;   in Loop: Header=BB7_15 Depth=1
	v_add_nc_u32_e32 v6, 1, v40
	v_mov_b32_e32 v1, 0x9058
	v_lshl_add_u32 v0, v40, 3, 0x9058
	s_mov_b32 s7, exec_lo
	buffer_store_dword v6, v1, s[0:3], 0 offen
	buffer_store_dword v61, v0, s[0:3], 0 offen offset:12
	buffer_store_dword v61, v0, s[0:3], 0 offen offset:8
.LBB7_53:                               ;   in Loop: Header=BB7_15 Depth=1
	s_or_b32 exec_lo, exec_lo, s4
	s_and_b32 s7, s7, exec_lo
	s_orn2_b32 s4, vcc_lo, exec_lo
.LBB7_54:                               ;   in Loop: Header=BB7_15 Depth=1
	s_or_b32 exec_lo, exec_lo, s6
	s_and_b32 s82, s7, exec_lo
	s_and_b32 s4, s4, exec_lo
.LBB7_55:                               ;   in Loop: Header=BB7_15 Depth=1
	s_andn2_saveexec_b32 s5, s5
; %bb.56:                               ;   in Loop: Header=BB7_15 Depth=1
	v_cmp_ne_u32_e32 vcc_lo, 0, v2
	s_andn2_b32 s4, s4, exec_lo
	s_mov_b32 s16, exec_lo
	s_and_b32 s6, vcc_lo, exec_lo
	s_or_b32 s4, s4, s6
; %bb.57:                               ;   in Loop: Header=BB7_15 Depth=1
	s_or_b32 exec_lo, exec_lo, s5
	v_lshlrev_b32_e32 v0, 4, v88
	s_mov_b32 s5, -1
	v_readlane_b32 s8, v78, 5
	v_writelane_b32 v76, s5, 1
	v_readlane_b32 s10, v78, 7
	v_ashrrev_i32_e32 v1, 31, v0
	s_mov_b32 s5, 0
	v_readlane_b32 s11, v78, 8
	v_writelane_b32 v76, s5, 2
	v_mov_b32_e32 v63, v6
	v_lshlrev_b64 v[0:1], 2, v[0:1]
	v_readlane_b32 s9, v78, 6
	v_readlane_b32 s12, v78, 9
	v_writelane_b32 v76, s5, 3
	v_readlane_b32 s13, v78, 10
	v_readlane_b32 s14, v78, 11
	v_add_co_u32 v89, vcc_lo, s10, v0
	v_add_co_ci_u32_e64 v90, null, s11, v1, vcc_lo
	v_readlane_b32 s15, v78, 12
	v_writelane_b32 v76, s5, 4
	s_and_saveexec_b32 s11, s4
	s_cbranch_execz .LBB7_77
; %bb.58:                               ;   in Loop: Header=BB7_15 Depth=1
	v_mov_b32_e32 v0, -1
	s_mov_b32 s6, -1
	s_mov_b32 s10, -1
	s_mov_b32 s12, 0
	s_mov_b32 s4, exec_lo
	buffer_store_dword v61, v43, s[0:3], 0 offen offset:32
	v_cmpx_lt_i32_e32 0, v2
	s_cbranch_execz .LBB7_62
; %bb.59:                               ;   in Loop: Header=BB7_15 Depth=1
	v_mov_b32_e32 v0, -1
	s_mov_b32 s6, 0
	s_mov_b32 s7, exec_lo
	v_cmpx_gt_u32_e32 0x1001, v2
	s_cbranch_execz .LBB7_61
; %bb.60:                               ;   in Loop: Header=BB7_15 Depth=1
	v_lshl_add_u32 v0, v2, 3, 0x1050
	v_lshlrev_b32_e32 v1, 2, v2
	s_mov_b32 s6, exec_lo
	v_sub_nc_u32_e32 v0, v0, v1
	v_lshlrev_b32_e32 v1, 1, v2
	v_add_nc_u32_e32 v0, 4, v0
	buffer_store_dword v1, v43, s[0:3], 0 offen offset:44
.LBB7_61:                               ;   in Loop: Header=BB7_15 Depth=1
	s_or_b32 exec_lo, exec_lo, s7
	s_mov_b32 s12, exec_lo
	s_xor_b32 s10, exec_lo, -1
	s_orn2_b32 s6, s6, exec_lo
.LBB7_62:                               ;   in Loop: Header=BB7_15 Depth=1
	s_or_b32 exec_lo, exec_lo, s4
	s_mov_b32 s4, s82
	s_mov_b32 s8, 0
                                        ; implicit-def: $vgpr6
                                        ; implicit-def: $vgpr63
	s_and_saveexec_b32 s14, s6
	s_cbranch_execz .LBB7_76
; %bb.63:                               ;   in Loop: Header=BB7_15 Depth=1
	v_readlane_b32 s4, v78, 3
	v_cmp_ne_u32_e32 vcc_lo, -1, v0
	v_readlane_b32 s5, v78, 4
	s_mov_b32 s4, exec_lo
	v_cndmask_b32_e32 v1, 0, v0, vcc_lo
	v_cndmask_b32_e64 v3, 0, s5, vcc_lo
	buffer_store_dword v3, v43, s[0:3], 0 offen offset:40
	buffer_store_dword v1, v43, s[0:3], 0 offen offset:36
	v_cmpx_lt_i32_e32 0, v2
	s_cbranch_execz .LBB7_67
; %bb.64:                               ;   in Loop: Header=BB7_15 Depth=1
	v_mov_b32_e32 v1, v2
	v_readlane_b32 s6, v78, 31
	s_mov_b32 s5, 0
	.p2align	6
.LBB7_65:                               ;   Parent Loop BB7_15 Depth=1
                                        ; =>  This Inner Loop Header: Depth=2
	v_mov_b32_e32 v3, s6
	v_add_nc_u32_e32 v1, -1, v1
	s_add_i32 s6, s6, 4
	buffer_load_dword v3, v3, s[0:3], 0 offen
	v_cmp_eq_u32_e32 vcc_lo, 0, v1
	s_or_b32 s5, vcc_lo, s5
	s_waitcnt vmcnt(0)
	v_lshrrev_b32_e32 v4, 1, v3
	v_or_b32_e32 v4, v4, v3
	v_and_b32_e32 v4, 0x55555555, v4
	v_lshl_add_u32 v4, v4, 1, v4
	v_xor_b32_e32 v3, v4, v3
	buffer_store_dword v3, v0, s[0:3], 0 offen
	v_add_nc_u32_e32 v0, 4, v0
	s_andn2_b32 exec_lo, exec_lo, s5
	s_cbranch_execnz .LBB7_65
; %bb.66:                               ;   in Loop: Header=BB7_15 Depth=1
	s_or_b32 exec_lo, exec_lo, s5
	buffer_store_dword v2, v43, s[0:3], 0 offen offset:32
.LBB7_67:                               ;   in Loop: Header=BB7_15 Depth=1
	v_writelane_b32 v76, s14, 5
	v_writelane_b32 v76, s10, 4
	v_writelane_b32 v76, s12, 2
	v_writelane_b32 v76, s11, 3
	v_writelane_b32 v76, s16, 1
	v_writelane_b32 v76, s47, 6
	s_or_b32 exec_lo, exec_lo, s4
	v_readlane_b32 s6, v78, 3
	v_readlane_b32 s7, v78, 4
	v_lshlrev_b32_e32 v2, 1, v40
	v_mov_b32_e32 v0, 0x1040
	v_mov_b32_e32 v3, 0x1050
	;; [unrolled: 1-line block ×6, first 2 shown]
	s_add_u32 s8, s54, 0x80
	s_addc_u32 s9, s55, 0
	s_getpc_b64 s[4:5]
	s_add_u32 s4, s4, _ZN3sop12sopFactorRecEPNS_3SopEiP7VecsMemIjLi8192EEPN8subgUtil4SubgILi256EEE@rel32@lo+4
	s_addc_u32 s5, s5, _ZN3sop12sopFactorRecEPNS_3SopEiP7VecsMemIjLi8192EEPN8subgUtil4SubgILi256EEE@rel32@hi+12
	s_swappc_b64 s[30:31], s[4:5]
	v_mov_b32_e32 v1, 0x9058
	s_mov_b32 s4, s82
	s_mov_b32 s5, exec_lo
                                        ; implicit-def: $vgpr63
	buffer_load_dword v6, v1, s[0:3], 0 offen
	v_ashrrev_i32_e32 v1, 1, v0
	v_cmpx_ge_i32_e64 v1, v40
	s_xor_b32 s5, exec_lo, s5
; %bb.68:                               ;   in Loop: Header=BB7_15 Depth=1
	v_add_nc_u32_e32 v63, 1, v40
	s_or_b32 s4, s82, exec_lo
                                        ; implicit-def: $vgpr1
                                        ; implicit-def: $vgpr0
; %bb.69:                               ;   in Loop: Header=BB7_15 Depth=1
	s_or_saveexec_b32 s5, s5
	v_readlane_b32 s13, v76, 4
	v_readlane_b32 s12, v76, 2
	;; [unrolled: 1-line block ×9, first 2 shown]
	s_mov_b32 s6, 0
	s_mov_b32 s10, s13
	;; [unrolled: 1-line block ×4, first 2 shown]
	s_xor_b32 exec_lo, exec_lo, s5
	s_cbranch_execz .LBB7_75
; %bb.70:                               ;   in Loop: Header=BB7_15 Depth=1
	s_waitcnt vmcnt(0)
	v_cmp_eq_u32_e32 vcc_lo, v6, v40
	s_mov_b32 s10, -1
	s_mov_b32 s7, 0
	s_mov_b32 s8, s4
                                        ; implicit-def: $vgpr6
	s_and_saveexec_b32 s6, vcc_lo
	s_cbranch_execz .LBB7_74
; %bb.71:                               ;   in Loop: Header=BB7_15 Depth=1
	v_ashrrev_i32_e32 v2, 31, v1
	s_mov_b32 s8, s4
	s_mov_b32 s7, exec_lo
                                        ; implicit-def: $vgpr6
	v_lshlrev_b64 v[1:2], 2, v[1:2]
	v_add_co_u32 v1, vcc_lo, v89, v1
	v_add_co_ci_u32_e64 v2, null, v90, v2, vcc_lo
	global_load_dword v1, v[1:2], off
	s_waitcnt vmcnt(0)
	v_lshlrev_b32_e32 v1, 1, v1
	v_cmpx_lt_i32_e32 -1, v1
	s_xor_b32 s7, exec_lo, s7
	s_cbranch_execz .LBB7_73
; %bb.72:                               ;   in Loop: Header=BB7_15 Depth=1
	v_and_b32_e32 v0, 1, v0
	v_add_nc_u32_e32 v6, 1, v40
	v_lshl_add_u32 v2, v40, 3, 0x9058
	v_mov_b32_e32 v3, 0x9058
	s_or_b32 s8, s4, exec_lo
	v_or_b32_e32 v1, v1, v0
	buffer_store_dword v6, v3, s[0:3], 0 offen
	buffer_store_dword v1, v2, s[0:3], 0 offen offset:12
	v_lshl_or_b32 v0, v1, 1, v0
	buffer_store_dword v0, v2, s[0:3], 0 offen offset:8
.LBB7_73:                               ;   in Loop: Header=BB7_15 Depth=1
	s_or_b32 exec_lo, exec_lo, s7
	s_andn2_b32 s9, s4, exec_lo
	s_and_b32 s8, s8, exec_lo
	s_mov_b32 s7, exec_lo
	s_xor_b32 s10, exec_lo, -1
	s_or_b32 s8, s9, s8
.LBB7_74:                               ;   in Loop: Header=BB7_15 Depth=1
	s_or_b32 exec_lo, exec_lo, s6
	v_mov_b32_e32 v63, v6
	s_andn2_b32 s4, s4, exec_lo
	s_and_b32 s8, s8, exec_lo
	s_and_b32 s9, s7, exec_lo
	;; [unrolled: 1-line block ×3, first 2 shown]
	s_andn2_b32 s7, s12, exec_lo
	s_andn2_b32 s10, s13, exec_lo
	s_or_b32 s4, s4, s8
.LBB7_75:                               ;   in Loop: Header=BB7_15 Depth=1
	s_or_b32 exec_lo, exec_lo, s5
	s_and_b32 s8, s9, exec_lo
	s_andn2_b32 s9, s12, exec_lo
	s_and_b32 s7, s7, exec_lo
	s_and_b32 s5, s6, exec_lo
	s_or_b32 s12, s9, s7
	s_andn2_b32 s6, s13, exec_lo
	s_and_b32 s7, s10, exec_lo
	s_andn2_b32 s9, s82, exec_lo
	s_and_b32 s4, s4, exec_lo
	s_or_b32 s10, s6, s7
	s_or_b32 s4, s9, s4
.LBB7_76:                               ;   in Loop: Header=BB7_15 Depth=1
	s_or_b32 exec_lo, exec_lo, s14
	s_and_b32 s6, s8, exec_lo
	s_and_b32 s5, s5, exec_lo
	v_writelane_b32 v76, s6, 4
	s_and_b32 s4, s4, exec_lo
	s_orn2_b32 s6, s10, exec_lo
	s_andn2_b32 s16, s16, exec_lo
	v_writelane_b32 v76, s5, 3
	s_and_b32 s5, s12, exec_lo
	v_writelane_b32 v76, s5, 2
	s_andn2_b32 s5, s82, exec_lo
	s_or_b32 s82, s5, s4
	v_writelane_b32 v76, s6, 1
.LBB7_77:                               ;   in Loop: Header=BB7_15 Depth=1
	s_or_b32 exec_lo, exec_lo, s11
	s_and_saveexec_b32 s4, s16
	s_cbranch_execz .LBB7_79
; %bb.78:                               ;   in Loop: Header=BB7_15 Depth=1
	s_waitcnt vmcnt(0)
	v_add_nc_u32_e32 v6, 1, v40
	v_lshl_add_u32 v0, v40, 3, 0x9058
	v_mov_b32_e32 v1, 0x9058
	s_or_b32 s82, s82, exec_lo
	buffer_store_dword v6, v1, s[0:3], 0 offen
	buffer_store_dword v45, v0, s[0:3], 0 offen offset:12
	v_mov_b32_e32 v63, v6
	buffer_store_dword v46, v0, s[0:3], 0 offen offset:8
.LBB7_79:                               ;   in Loop: Header=BB7_15 Depth=1
	s_or_b32 exec_lo, exec_lo, s4
	s_mov_b32 s6, -1
	s_mov_b32 s4, 0
	s_mov_b32 s7, 0
	;; [unrolled: 1-line block ×19, first 2 shown]
	s_mov_b32 s5, exec_lo
	v_writelane_b32 v76, s5, 5
	s_and_b32 s5, s5, s82
	s_mov_b32 exec_lo, s5
	s_cbranch_execz .LBB7_9
; %bb.80:                               ;   in Loop: Header=BB7_15 Depth=1
	s_waitcnt vmcnt(0)
	v_cmp_ne_u32_e64 s4, v6, v63
	s_mov_b32 s25, 0
	s_mov_b32 s5, exec_lo
	v_cmpx_eq_u32_e64 v6, v63
	s_cbranch_execz .LBB7_82
; %bb.81:                               ;   in Loop: Header=BB7_15 Depth=1
	v_lshl_add_u32 v0, v40, 3, 0x9058
	s_andn2_b32 s4, s4, exec_lo
	s_mov_b32 s7, exec_lo
	s_clause 0x1
	buffer_load_dword v1, v0, s[0:3], 0 offen offset:8
	buffer_load_dword v0, v0, s[0:3], 0 offen offset:12
	s_waitcnt vmcnt(1)
	v_lshrrev_b32_e32 v1, 1, v1
	s_waitcnt vmcnt(0)
	v_cmp_ne_u32_e32 vcc_lo, v1, v0
	s_and_b32 s6, vcc_lo, exec_lo
	s_or_b32 s4, s4, s6
.LBB7_82:                               ;   in Loop: Header=BB7_15 Depth=1
	s_or_b32 exec_lo, exec_lo, s5
	v_readlane_b32 s5, v76, 1
	v_mov_b32_e32 v74, 0
	v_writelane_b32 v76, s5, 7
	v_readlane_b32 s5, v76, 3
	v_readlane_b32 s23, v76, 2
	v_writelane_b32 v76, s5, 8
	v_readlane_b32 s5, v76, 4
	v_writelane_b32 v76, s5, 9
	s_and_saveexec_b32 s8, s4
	s_cbranch_execz .LBB7_117
; %bb.83:                               ;   in Loop: Header=BB7_15 Depth=1
	v_cmp_lt_i32_e32 vcc_lo, 0, v40
	s_and_saveexec_b32 s5, vcc_lo
	v_readlane_b32 s12, v78, 17
	v_readlane_b32 s13, v78, 18
	;; [unrolled: 1-line block ×8, first 2 shown]
	s_cbranch_execz .LBB7_86
; %bb.84:                               ;   in Loop: Header=BB7_15 Depth=1
	v_mov_b32_e32 v0, v89
	v_mov_b32_e32 v1, v90
	;; [unrolled: 1-line block ×3, first 2 shown]
	s_movk_i32 s6, 0xc20
	s_movk_i32 s9, 0x820
	.p2align	6
.LBB7_85:                               ;   Parent Loop BB7_15 Depth=1
                                        ; =>  This Inner Loop Header: Depth=2
	global_load_dword v3, v[0:1], off
	v_add_nc_u32_e32 v2, -1, v2
	v_add_co_u32 v0, s4, v0, 4
	v_add_co_ci_u32_e64 v1, null, 0, v1, s4
	v_mov_b32_e32 v7, s6
	s_add_i32 s6, s6, 4
	s_waitcnt vmcnt(0)
	v_ashrrev_i32_e32 v4, 31, v3
	v_lshlrev_b64 v[4:5], 2, v[3:4]
	v_add_co_u32 v4, vcc_lo, s12, v4
	v_add_co_ci_u32_e64 v5, null, s13, v5, vcc_lo
	v_cmp_eq_u32_e32 vcc_lo, 0, v2
	global_load_dword v4, v[4:5], off
	v_mov_b32_e32 v5, s9
	s_add_i32 s9, s9, 4
	s_or_b32 s10, vcc_lo, s10
	buffer_store_dword v3, v5, s[0:3], 0 offen
	s_waitcnt vmcnt(0)
	buffer_store_dword v4, v7, s[0:3], 0 offen
	s_andn2_b32 exec_lo, exec_lo, s10
	s_cbranch_execnz .LBB7_85
.LBB7_86:                               ;   in Loop: Header=BB7_15 Depth=1
	s_or_b32 exec_lo, exec_lo, s5
	v_mov_b32_e32 v0, 0
	v_readlane_b32 s5, v76, 1
	v_readlane_b32 s6, v76, 2
	;; [unrolled: 1-line block ×4, first 2 shown]
	s_mov_b32 s14, -1
	s_mov_b32 s4, 0
	s_mov_b32 s11, 0
	;; [unrolled: 1-line block ×3, first 2 shown]
	s_mov_b32 s9, exec_lo
	v_cmpx_lt_i32_e64 v40, v6
	s_cbranch_execz .LBB7_114
; %bb.87:                               ;   in Loop: Header=BB7_15 Depth=1
	v_mov_b32_e32 v7, 0
	v_mov_b32_e32 v8, v40
	s_mov_b32 s14, 0
                                        ; implicit-def: $sgpr13
                                        ; implicit-def: $sgpr12
                                        ; implicit-def: $sgpr10
                                        ; implicit-def: $sgpr11
                                        ; implicit-def: $sgpr17
                                        ; implicit-def: $sgpr15
                                        ; implicit-def: $sgpr16
                                        ; implicit-def: $sgpr18
                                        ; implicit-def: $sgpr19
	s_branch .LBB7_93
.LBB7_88:                               ;   in Loop: Header=BB7_93 Depth=2
	s_or_b32 exec_lo, exec_lo, s27
	s_andn2_b32 s22, s22, exec_lo
	s_and_b32 s26, s26, exec_lo
	s_andn2_b32 s23, s23, exec_lo
	s_or_b32 s22, s22, s26
	s_orn2_b32 s26, s25, exec_lo
.LBB7_89:                               ;   in Loop: Header=BB7_93 Depth=2
	s_or_b32 exec_lo, exec_lo, s24
	s_andn2_b32 s5, s5, exec_lo
	s_and_b32 s22, s22, exec_lo
	s_andn2_b32 s4, s4, exec_lo
	s_and_b32 s23, s23, exec_lo
	s_or_b32 s5, s5, s22
	s_or_b32 s4, s4, s23
	s_orn2_b32 s22, s26, exec_lo
.LBB7_90:                               ;   in Loop: Header=BB7_93 Depth=2
	s_or_b32 exec_lo, exec_lo, s6
	s_and_b32 s5, s5, exec_lo
	s_orn2_b32 s6, s4, exec_lo
	s_orn2_b32 s4, s22, exec_lo
.LBB7_91:                               ;   in Loop: Header=BB7_93 Depth=2
	s_or_b32 exec_lo, exec_lo, s21
	s_andn2_b32 s19, s19, exec_lo
	s_and_b32 s5, s5, exec_lo
	s_andn2_b32 s18, s18, exec_lo
	s_and_b32 s6, s6, exec_lo
	s_or_b32 s19, s19, s5
	s_andn2_b32 s5, s17, exec_lo
	s_and_b32 s4, s4, exec_lo
	s_or_b32 s18, s18, s6
	s_andn2_b32 s16, s16, exec_lo
	s_or_b32 s15, s15, exec_lo
	s_or_b32 s17, s5, s4
.LBB7_92:                               ;   in Loop: Header=BB7_93 Depth=2
	s_or_b32 exec_lo, exec_lo, s20
	s_xor_b32 s4, s19, -1
	s_xor_b32 s5, s18, -1
	s_and_b32 s6, exec_lo, s17
	s_or_b32 s14, s6, s14
	s_andn2_b32 s6, s11, exec_lo
	s_and_b32 s11, s16, exec_lo
	s_andn2_b32 s10, s10, exec_lo
	s_and_b32 s20, s15, exec_lo
	s_or_b32 s11, s6, s11
	s_andn2_b32 s6, s12, exec_lo
	s_and_b32 s4, s4, exec_lo
	s_andn2_b32 s13, s13, exec_lo
	s_and_b32 s5, s5, exec_lo
	s_or_b32 s10, s10, s20
	s_or_b32 s12, s6, s4
	;; [unrolled: 1-line block ×3, first 2 shown]
	s_andn2_b32 exec_lo, exec_lo, s14
	s_cbranch_execz .LBB7_111
.LBB7_93:                               ;   Parent Loop BB7_15 Depth=1
                                        ; =>  This Loop Header: Depth=2
                                        ;       Child Loop BB7_99 Depth 3
	v_lshl_add_u32 v0, v8, 3, 0x9058
	s_andn2_b32 s19, s19, exec_lo
	s_or_b32 s18, s18, exec_lo
	s_or_b32 s16, s16, exec_lo
	s_andn2_b32 s15, s15, exec_lo
	s_clause 0x1
	buffer_load_dword v1, v0, s[0:3], 0 offen offset:8
	buffer_load_dword v2, v0, s[0:3], 0 offen offset:12
	s_or_b32 s17, s17, exec_lo
	s_mov_b32 s20, exec_lo
	s_waitcnt vmcnt(1)
	v_lshrrev_b32_e32 v0, 1, v1
	s_waitcnt vmcnt(0)
	v_cmpx_gt_i32_e64 v0, v2
	s_cbranch_execz .LBB7_92
; %bb.94:                               ;   in Loop: Header=BB7_93 Depth=2
	v_ashrrev_i32_e32 v10, 1, v2
	v_lshrrev_b32_e32 v9, 2, v1
	s_mov_b32 s4, -1
	s_mov_b32 s5, 0
	s_mov_b32 s6, -1
	s_mov_b32 s21, exec_lo
	v_max_i32_e32 v0, v9, v10
	v_cmpx_lt_i32_e64 v0, v8
	s_cbranch_execz .LBB7_91
; %bb.95:                               ;   in Loop: Header=BB7_93 Depth=2
	v_lshl_add_u32 v0, v10, 2, 0x820
	v_lshl_add_u32 v4, v9, 2, 0x820
	s_mov_b32 s22, -1
	s_mov_b32 s24, -1
	s_clause 0x1
	buffer_load_dword v3, v0, s[0:3], 0 offen
	buffer_load_dword v4, v4, s[0:3], 0 offen
	v_mov_b32_e32 v0, -1
	s_waitcnt vmcnt(1)
	v_cmp_ne_u32_e32 vcc_lo, -1, v3
	s_waitcnt vmcnt(0)
	v_cmp_ne_u32_e64 s4, -1, v4
	s_and_b32 s6, vcc_lo, s4
	s_mov_b32 s4, -1
	s_and_saveexec_b32 s23, s6
	s_cbranch_execz .LBB7_105
; %bb.96:                               ;   in Loop: Header=BB7_93 Depth=2
	v_and_b32_e32 v0, 1, v2
	v_bfe_u32 v1, v1, 1, 1
	v_readlane_b32 s34, v77, 3
	v_readlane_b32 s35, v77, 4
	v_lshl_or_b32 v0, v3, 1, v0
	v_lshl_or_b32 v2, v4, 1, v1
	s_sub_u32 s6, 0, s34
	s_subb_u32 s24, 0, s35
	v_min_i32_e32 v1, v0, v2
	v_max_i32_e32 v0, v0, v2
	v_lshrrev_b32_e32 v2, 1, v1
	v_mul_lo_u32 v4, 0xed558ccd, v1
	v_xor_b32_e32 v2, v0, v2
	v_mul_lo_u32 v5, 0xff51afd7, v2
	v_mad_u64_u32 v[2:3], null, 0xed558ccd, v2, 0
	v_add3_u32 v3, v3, v5, v4
	v_lshrrev_b32_e32 v4, 1, v3
	v_xor_b32_e32 v2, v4, v2
	v_mul_lo_u32 v4, 0x1a85ec53, v3
	v_mul_lo_u32 v5, 0xc4ceb9fe, v2
	v_mad_u64_u32 v[2:3], null, 0x1a85ec53, v2, 0
	v_add3_u32 v4, v3, v5, v4
	v_lshrrev_b32_e32 v3, 1, v4
	v_xor_b32_e32 v5, v3, v2
	v_cvt_f32_u32_e32 v2, s34
	v_cvt_f32_u32_e32 v3, s35
	v_fmac_f32_e32 v2, 0x4f800000, v3
	v_rcp_f32_e32 v2, v2
	v_mul_f32_e32 v2, 0x5f7ffffc, v2
	v_mul_f32_e32 v3, 0x2f800000, v2
	v_trunc_f32_e32 v3, v3
	v_fmac_f32_e32 v2, 0xcf800000, v3
	v_cvt_u32_f32_e32 v3, v3
	v_cvt_u32_f32_e32 v2, v2
	v_readfirstlane_b32 s4, v3
	v_readfirstlane_b32 s5, v2
	s_mul_i32 s25, s6, s4
	s_mul_hi_u32 s27, s6, s5
	s_mul_i32 s26, s24, s5
	s_add_i32 s25, s27, s25
	s_mul_i32 s28, s6, s5
	s_add_i32 s25, s25, s26
	s_mul_hi_u32 s27, s5, s28
	s_mul_i32 s30, s5, s25
	s_mul_hi_u32 s29, s4, s28
	s_mul_i32 s26, s4, s28
	s_mul_hi_u32 s28, s5, s25
	s_add_u32 s27, s27, s30
	s_addc_u32 s28, 0, s28
	s_mul_hi_u32 s31, s4, s25
	s_add_u32 s26, s27, s26
	s_mul_i32 s25, s4, s25
	s_addc_u32 s26, s28, s29
	s_addc_u32 s27, s31, 0
	s_add_u32 s25, s26, s25
	s_addc_u32 s26, 0, s27
	s_add_u32 s5, s5, s25
	s_cselect_b32 s25, -1, 0
	s_mul_hi_u32 s27, s6, s5
	s_cmp_lg_u32 s25, 0
	s_mul_i32 s25, s6, s5
	s_addc_u32 s4, s4, s26
	s_mul_i32 s24, s24, s5
	s_mul_i32 s6, s6, s4
	s_mul_hi_u32 s26, s5, s25
	s_add_i32 s6, s27, s6
	s_mul_hi_u32 s27, s4, s25
	s_add_i32 s6, s6, s24
	s_mul_i32 s24, s4, s25
	s_mul_i32 s29, s5, s6
	s_mul_hi_u32 s28, s5, s6
	s_add_u32 s26, s26, s29
	s_addc_u32 s28, 0, s28
	s_mul_hi_u32 s25, s4, s6
	s_add_u32 s24, s26, s24
	s_mul_i32 s6, s4, s6
	s_addc_u32 s24, s28, s27
	s_addc_u32 s25, s25, 0
	s_add_u32 s6, s24, s6
	s_addc_u32 s24, 0, s25
	s_add_u32 s5, s5, s6
	s_cselect_b32 s6, -1, 0
	v_mul_hi_u32 v11, v5, s5
	s_cmp_lg_u32 s6, 0
	s_addc_u32 s4, s4, s24
	v_readlane_b32 s24, v78, 13
	v_mad_u64_u32 v[2:3], null, v5, s4, 0
	v_readlane_b32 s25, v78, 14
	v_readlane_b32 s26, v78, 15
	;; [unrolled: 1-line block ×3, first 2 shown]
	v_add_co_u32 v11, vcc_lo, v11, v2
	v_add_co_ci_u32_e64 v12, null, 0, v3, vcc_lo
	v_mad_u64_u32 v[2:3], null, v4, s5, 0
	v_add_co_u32 v2, vcc_lo, v11, v2
	v_add_co_ci_u32_e32 v11, vcc_lo, v12, v3, vcc_lo
	v_mad_u64_u32 v[2:3], null, v4, s4, 0
	v_add_co_ci_u32_e32 v3, vcc_lo, 0, v3, vcc_lo
	v_add_co_u32 v2, s4, v11, v2
	v_add_co_ci_u32_e64 v3, null, 0, v3, s4
	v_mul_lo_u32 v12, s35, v2
	v_mul_lo_u32 v11, s34, v3
	v_mad_u64_u32 v[2:3], null, s34, v2, 0
	v_add3_u32 v3, v3, v11, v12
	v_sub_co_u32 v2, vcc_lo, v5, v2
	v_sub_co_ci_u32_e64 v5, null, v4, v3, vcc_lo
	v_cmp_le_u32_e64 s4, s34, v2
	v_sub_nc_u32_e32 v3, v4, v3
	v_cmp_le_u32_e64 s5, s35, v5
	v_cmp_eq_u32_e64 s6, s35, v5
	v_cndmask_b32_e64 v4, 0, -1, s4
	v_subrev_co_ci_u32_e64 v3, null, s35, v3, vcc_lo
	v_cndmask_b32_e64 v11, 0, -1, s5
	v_cndmask_b32_e64 v4, v11, v4, s6
	v_sub_co_u32 v11, vcc_lo, v2, s34
	v_subrev_co_ci_u32_e64 v12, null, 0, v3, vcc_lo
	v_subrev_co_ci_u32_e64 v3, null, s35, v3, vcc_lo
	v_cmp_le_u32_e64 s4, s34, v11
	v_cmp_le_u32_e64 s5, s35, v12
	v_cmp_eq_u32_e64 s6, s35, v12
	v_cndmask_b32_e64 v13, 0, -1, s4
	v_cndmask_b32_e64 v14, 0, -1, s5
	v_cmp_ne_u32_e64 s4, 0, v4
	v_sub_co_u32 v4, vcc_lo, v11, s34
	v_subrev_co_ci_u32_e64 v3, null, 0, v3, vcc_lo
	v_cndmask_b32_e64 v13, v14, v13, s6
	v_cmp_ne_u32_e64 s5, 0, v13
	v_cndmask_b32_e64 v3, v12, v3, s5
	v_cndmask_b32_e64 v4, v11, v4, s5
	s_mov_b32 s5, -1
	v_cndmask_b32_e64 v3, v5, v3, s4
	v_cndmask_b32_e64 v2, v2, v4, s4
	s_mov_b32 s4, exec_lo
	v_lshlrev_b64 v[4:5], 3, v[2:3]
	v_add_co_u32 v4, vcc_lo, s24, v4
	v_add_co_ci_u32_e64 v5, null, s25, v5, vcc_lo
	global_load_dwordx2 v[4:5], v[4:5], off
	s_waitcnt vmcnt(0)
	v_cmpx_ne_u64_e64 v[4:5], v[0:1]
	s_cbranch_execz .LBB7_102
; %bb.97:                               ;   in Loop: Header=BB7_93 Depth=2
	s_mov_b32 s5, 0
                                        ; implicit-def: $sgpr6
                                        ; implicit-def: $sgpr25
                                        ; implicit-def: $sgpr24
	s_inst_prefetch 0x1
	s_branch .LBB7_99
	.p2align	6
.LBB7_98:                               ;   in Loop: Header=BB7_99 Depth=3
	s_or_b32 exec_lo, exec_lo, s26
	s_xor_b32 s26, s24, -1
	s_and_b32 s27, exec_lo, s25
	s_or_b32 s5, s27, s5
	s_andn2_b32 s6, s6, exec_lo
	s_and_b32 s26, s26, exec_lo
	s_or_b32 s6, s6, s26
	s_andn2_b32 exec_lo, exec_lo, s5
	s_cbranch_execz .LBB7_101
.LBB7_99:                               ;   Parent Loop BB7_15 Depth=1
                                        ;     Parent Loop BB7_93 Depth=2
                                        ; =>    This Inner Loop Header: Depth=3
	v_cmp_ne_u64_e32 vcc_lo, -1, v[4:5]
	s_or_b32 s24, s24, exec_lo
	s_or_b32 s25, s25, exec_lo
                                        ; implicit-def: $vgpr4_vgpr5
	s_and_saveexec_b32 s26, vcc_lo
	s_cbranch_execz .LBB7_98
; %bb.100:                              ;   in Loop: Header=BB7_99 Depth=3
	v_add_co_u32 v2, vcc_lo, v2, 1
	v_readlane_b32 s28, v77, 3
	v_add_co_ci_u32_e64 v3, null, 0, v3, vcc_lo
	v_readlane_b32 s29, v77, 4
	s_andn2_b32 s25, s25, exec_lo
	s_andn2_b32 s24, s24, exec_lo
	v_cmp_ne_u64_e32 vcc_lo, s[28:29], v[2:3]
	v_readlane_b32 s28, v78, 13
	v_readlane_b32 s29, v78, 14
	v_readlane_b32 s30, v78, 15
	v_readlane_b32 s31, v78, 16
	v_cndmask_b32_e32 v3, 0, v3, vcc_lo
	v_cndmask_b32_e32 v2, 0, v2, vcc_lo
	v_lshlrev_b64 v[4:5], 3, v[2:3]
	v_add_co_u32 v4, vcc_lo, s28, v4
	v_add_co_ci_u32_e64 v5, null, s29, v5, vcc_lo
	global_load_dwordx2 v[4:5], v[4:5], off
	s_waitcnt vmcnt(0)
	v_cmp_eq_u64_e32 vcc_lo, v[4:5], v[0:1]
	s_and_b32 s27, vcc_lo, exec_lo
	s_or_b32 s25, s25, s27
	s_branch .LBB7_98
.LBB7_101:                              ;   in Loop: Header=BB7_93 Depth=2
	s_inst_prefetch 0x2
	s_or_b32 exec_lo, exec_lo, s5
	s_orn2_b32 s5, s6, exec_lo
.LBB7_102:                              ;   in Loop: Header=BB7_93 Depth=2
	s_or_b32 exec_lo, exec_lo, s4
	v_mov_b32_e32 v0, -1
	s_and_saveexec_b32 s4, s5
	s_cbranch_execz .LBB7_104
; %bb.103:                              ;   in Loop: Header=BB7_93 Depth=2
	v_lshlrev_b64 v[0:1], 2, v[2:3]
	v_readlane_b32 s24, v78, 13
	v_readlane_b32 s26, v78, 15
	;; [unrolled: 1-line block ×4, first 2 shown]
	v_add_co_u32 v0, vcc_lo, s26, v0
	v_add_co_ci_u32_e64 v1, null, s27, v1, vcc_lo
	global_load_dword v0, v[0:1], off
.LBB7_104:                              ;   in Loop: Header=BB7_93 Depth=2
	s_or_b32 exec_lo, exec_lo, s4
	s_waitcnt vmcnt(0)
	v_cmp_ne_u32_e32 vcc_lo, v0, v88
	s_mov_b32 s5, exec_lo
	s_xor_b32 s4, exec_lo, -1
	s_orn2_b32 s24, vcc_lo, exec_lo
.LBB7_105:                              ;   in Loop: Header=BB7_93 Depth=2
	s_or_b32 exec_lo, exec_lo, s23
	s_and_saveexec_b32 s6, s24
	s_cbranch_execz .LBB7_90
; %bb.106:                              ;   in Loop: Header=BB7_93 Depth=2
	v_cmp_ne_u32_e64 s25, -1, v0
	s_mov_b32 s23, s4
	s_mov_b32 s22, s5
	s_mov_b32 s24, exec_lo
	v_cmpx_eq_u32_e32 -1, v0
; %bb.107:                              ;   in Loop: Header=BB7_93 Depth=2
	v_add_nc_u32_e32 v1, 1, v7
	v_cmp_lt_i32_e32 vcc_lo, v7, v57
	s_andn2_b32 s25, s25, exec_lo
	s_or_b32 s22, s5, exec_lo
	s_andn2_b32 s23, s4, exec_lo
	v_mov_b32_e32 v7, v1
	s_and_b32 s26, vcc_lo, exec_lo
	s_or_b32 s25, s25, s26
; %bb.108:                              ;   in Loop: Header=BB7_93 Depth=2
	s_or_b32 exec_lo, exec_lo, s24
	s_mov_b32 s26, -1
	s_and_saveexec_b32 s24, s25
	s_cbranch_execz .LBB7_89
; %bb.109:                              ;   in Loop: Header=BB7_93 Depth=2
	v_lshl_add_u32 v1, v10, 2, 0xc20
	v_lshl_add_u32 v2, v9, 2, 0xc20
	;; [unrolled: 1-line block ×3, first 2 shown]
	s_mov_b32 s25, -1
	s_mov_b32 s27, exec_lo
	s_clause 0x1
	buffer_load_dword v1, v1, s[0:3], 0 offen
	buffer_load_dword v2, v2, s[0:3], 0 offen
	s_waitcnt vmcnt(0)
	v_max_i32_e32 v1, v1, v2
	v_add_nc_u32_e32 v2, 1, v1
	buffer_store_dword v2, v3, s[0:3], 0 offen
	v_cmpx_gt_i32_e32 0x3b9aca00, v1
	s_cbranch_execz .LBB7_88
; %bb.110:                              ;   in Loop: Header=BB7_93 Depth=2
	v_lshl_add_u32 v1, v8, 2, 0x820
	v_add_nc_u32_e32 v8, 1, v8
	s_xor_b32 s26, exec_lo, -1
	buffer_store_dword v0, v1, s[0:3], 0 offen
	v_cmp_ge_i32_e32 vcc_lo, v8, v6
	s_orn2_b32 s25, vcc_lo, exec_lo
	s_branch .LBB7_88
.LBB7_111:                              ;   in Loop: Header=BB7_15 Depth=1
	s_or_b32 exec_lo, exec_lo, s14
	v_mov_b32_e32 v0, 0
	s_mov_b32 s14, 0
	s_mov_b32 s4, 0
	s_and_saveexec_b32 s5, s13
	s_xor_b32 s5, exec_lo, s5
; %bb.112:                              ;   in Loop: Header=BB7_15 Depth=1
	v_mov_b32_e32 v0, v7
	s_mov_b32 s4, exec_lo
	s_and_b32 s14, s12, exec_lo
; %bb.113:                              ;   in Loop: Header=BB7_15 Depth=1
	s_or_b32 exec_lo, exec_lo, s5
	v_readlane_b32 s5, v76, 4
	s_and_b32 s13, s10, exec_lo
	s_and_b32 s11, s11, exec_lo
	;; [unrolled: 1-line block ×3, first 2 shown]
	s_orn2_b32 s14, s14, exec_lo
	s_andn2_b32 s12, s5, exec_lo
	v_readlane_b32 s5, v76, 3
	s_andn2_b32 s10, s5, exec_lo
	v_readlane_b32 s5, v76, 2
	;; [unrolled: 2-line block ×3, first 2 shown]
	s_andn2_b32 s5, s5, exec_lo
.LBB7_114:                              ;   in Loop: Header=BB7_15 Depth=1
	s_or_b32 exec_lo, exec_lo, s9
	v_mov_b32_e32 v74, -1
	s_and_saveexec_b32 s9, s14
	s_cbranch_execz .LBB7_116
; %bb.115:                              ;   in Loop: Header=BB7_15 Depth=1
	v_lshlrev_b32_e32 v1, 2, v6
	v_mov_b32_e32 v74, v0
	s_or_b32 s4, s4, exec_lo
	v_add3_u32 v1, 0xc20, v1, -4
	buffer_load_dword v56, v1, s[0:3], 0 offen
.LBB7_116:                              ;   in Loop: Header=BB7_15 Depth=1
	s_or_b32 exec_lo, exec_lo, s9
	v_readlane_b32 s9, v76, 4
	s_and_b32 s12, s12, exec_lo
	s_and_b32 s10, s10, exec_lo
	s_and_b32 s25, s11, exec_lo
	s_and_b32 s6, s6, exec_lo
	s_andn2_b32 s9, s9, exec_lo
	s_and_b32 s5, s5, exec_lo
	s_or_b32 s9, s9, s12
	s_andn2_b32 s7, s7, exec_lo
	v_writelane_b32 v76, s9, 9
	s_and_b32 s4, s4, exec_lo
	s_and_b32 s24, s13, exec_lo
	s_or_b32 s7, s7, s4
	v_readlane_b32 s9, v76, 3
	v_readlane_b32 s11, v76, 2
	s_andn2_b32 s9, s9, exec_lo
	s_andn2_b32 s11, s11, exec_lo
	s_or_b32 s9, s9, s10
	s_or_b32 s23, s11, s6
	v_writelane_b32 v76, s9, 8
	v_readlane_b32 s6, v76, 1
	s_andn2_b32 s6, s6, exec_lo
	s_or_b32 s5, s6, s5
	v_writelane_b32 v76, s5, 7
.LBB7_117:                              ;   in Loop: Header=BB7_15 Depth=1
	s_or_b32 exec_lo, exec_lo, s8
	s_mov_b32 s5, -1
	s_mov_b32 s4, 0
	s_mov_b32 s6, 0
	;; [unrolled: 1-line block ×17, first 2 shown]
	s_mov_b32 s26, exec_lo
	s_and_b32 s7, s26, s7
	v_writelane_b32 v76, s26, 10
	s_mov_b32 exec_lo, s7
	s_cbranch_execz .LBB7_8
; %bb.118:                              ;   in Loop: Header=BB7_15 Depth=1
	s_mov_b32 s5, exec_lo
	v_cmpx_lt_i32_e32 0, v75
	s_cbranch_execz .LBB7_121
; %bb.119:                              ;   in Loop: Header=BB7_15 Depth=1
	v_add_nc_u32_e32 v60, -1, v75
	v_readlane_b32 s8, v78, 27
	v_readlane_b32 s10, v78, 29
	;; [unrolled: 1-line block ×3, first 2 shown]
	v_add_nc_u32_e32 v2, 1, v75
	v_lshlrev_b64 v[0:1], 2, v[60:61]
	v_readlane_b32 s9, v78, 28
	v_add_co_u32 v0, vcc_lo, v91, v0
	v_add_co_ci_u32_e64 v1, null, v92, v1, vcc_lo
	v_add_co_u32 v0, vcc_lo, s10, v0
	v_add_co_ci_u32_e64 v1, null, s11, v1, vcc_lo
.LBB7_120:                              ;   Parent Loop BB7_15 Depth=1
                                        ; =>  This Inner Loop Header: Depth=2
	global_load_dword v3, v[0:1], off
	v_add_nc_u32_e32 v2, -1, v2
	v_cmp_gt_u32_e32 vcc_lo, 2, v2
	s_or_b32 s6, vcc_lo, s6
	s_waitcnt vmcnt(0)
	v_not_b32_e32 v3, v3
	global_store_dword v[0:1], v3, off
	v_add_co_u32 v0, s4, v0, -4
	v_add_co_ci_u32_e64 v1, null, -1, v1, s4
	s_andn2_b32 exec_lo, exec_lo, s6
	s_cbranch_execnz .LBB7_120
.LBB7_121:                              ;   in Loop: Header=BB7_15 Depth=1
	v_writelane_b32 v76, s24, 11
	v_writelane_b32 v76, s23, 12
	;; [unrolled: 1-line block ×3, first 2 shown]
	s_or_b32 exec_lo, exec_lo, s5
	buffer_load_dword v0, v43, s[0:3], 0 offen offset:44
	s_mov_b32 s5, -1
	s_mov_b32 s4, 0
	s_mov_b32 s7, -1
	s_mov_b32 s6, 0
	s_mov_b32 s8, 0
	;; [unrolled: 1-line block ×15, first 2 shown]
	s_waitcnt vmcnt(0)
	v_cmp_lt_i32_e32 vcc_lo, -1, v0
	s_mov_b32 s18, exec_lo
	v_writelane_b32 v76, s18, 14
	s_and_b32 s18, s18, vcc_lo
	s_mov_b32 exec_lo, s18
	s_cbranch_execz .LBB7_7
; %bb.122:                              ;   in Loop: Header=BB7_15 Depth=1
	v_readlane_b32 s6, v78, 3
	v_readlane_b32 s7, v78, 4
	v_mov_b32_e32 v0, v41
	v_mov_b32_e32 v1, v42
	v_mov_b32_e32 v2, v41
	v_mov_b32_e32 v3, v42
	v_mov_b32_e32 v4, v40
	v_mov_b32_e32 v5, 0x810
	v_mov_b32_e32 v6, s7
	v_mov_b32_e32 v7, 0x1050
	v_mov_b32_e32 v8, s7
	s_add_u32 s8, s54, 0x80
	s_addc_u32 s9, s55, 0
	s_getpc_b64 s[4:5]
	s_add_u32 s4, s4, _ZN3sop13minatoIsopRecEPKjS1_iPNS_3SopEP7VecsMemIjLi8192EE@rel32@lo+4
	s_addc_u32 s5, s5, _ZN3sop13minatoIsopRecEPKjS1_iPNS_3SopEP7VecsMemIjLi8192EE@rel32@hi+12
	v_writelane_b32 v76, s47, 6
	buffer_store_dword v61, v43, s[0:3], 0 offen offset:44
	s_swappc_b64 s[30:31], s[4:5]
	v_mov_b32_e32 v60, v75
	s_mov_b32 s4, 0
                                        ; implicit-def: $sgpr13
                                        ; implicit-def: $sgpr6
                                        ; implicit-def: $sgpr5
	s_inst_prefetch 0x1
	s_branch .LBB7_124
	.p2align	6
.LBB7_123:                              ;   in Loop: Header=BB7_124 Depth=2
	s_or_b32 exec_lo, exec_lo, s7
	s_and_b32 s7, exec_lo, s6
	s_or_b32 s4, s7, s4
	s_andn2_b32 s7, s13, exec_lo
	s_and_b32 s8, s5, exec_lo
	s_or_b32 s13, s7, s8
	s_andn2_b32 exec_lo, exec_lo, s4
	s_cbranch_execz .LBB7_126
.LBB7_124:                              ;   Parent Loop BB7_15 Depth=1
                                        ; =>  This Inner Loop Header: Depth=2
	s_or_b32 s5, s5, exec_lo
	s_or_b32 s6, s6, exec_lo
	s_mov_b32 s7, exec_lo
	v_cmpx_lt_i32_e32 0, v60
	s_cbranch_execz .LBB7_123
; %bb.125:                              ;   in Loop: Header=BB7_124 Depth=2
	v_add_nc_u32_e32 v60, -1, v60
	s_andn2_b32 s6, s6, exec_lo
	s_andn2_b32 s5, s5, exec_lo
	v_lshlrev_b64 v[2:3], 2, v[60:61]
	v_add_co_u32 v4, vcc_lo, v41, v2
	v_add_co_ci_u32_e64 v5, null, v42, v3, vcc_lo
	v_add_co_u32 v2, vcc_lo, v0, v2
	v_add_co_ci_u32_e64 v3, null, v1, v3, vcc_lo
	global_load_dword v4, v[4:5], off
	flat_load_dword v2, v[2:3]
	s_waitcnt vmcnt(0) lgkmcnt(0)
	v_cmp_ne_u32_e32 vcc_lo, v4, v2
	s_and_b32 s8, vcc_lo, exec_lo
	s_or_b32 s6, s6, s8
	s_branch .LBB7_123
.LBB7_126:                              ;   in Loop: Header=BB7_15 Depth=1
	s_inst_prefetch 0x2
	s_or_b32 exec_lo, exec_lo, s4
	s_mov_b32 s4, 0
	s_mov_b32 s5, -1
	s_mov_b32 s6, 0
	s_mov_b32 s7, 0
	;; [unrolled: 1-line block ×14, first 2 shown]
	s_mov_b32 s25, -1
	s_and_saveexec_b32 s14, s13
	v_readlane_b32 s54, v77, 6
	v_readlane_b32 s55, v77, 7
	;; [unrolled: 1-line block ×4, first 2 shown]
	s_xor_b32 s48, exec_lo, s14
	s_cbranch_execz .LBB7_6
; %bb.127:                              ;   in Loop: Header=BB7_15 Depth=1
	buffer_load_dword v2, off, s[0:3], 0 offset:2068
	s_mov_b32 s5, 0
	s_mov_b32 s6, exec_lo
	s_waitcnt vmcnt(0)
	v_cmpx_lt_i32_e32 0, v2
	s_xor_b32 s6, exec_lo, s6
	s_cbranch_execz .LBB7_131
; %bb.128:                              ;   in Loop: Header=BB7_15 Depth=1
	s_mov_b32 s4, -1
	s_mov_b32 s5, exec_lo
	v_cmpx_eq_u32_e32 1, v2
	s_cbranch_execz .LBB7_130
; %bb.129:                              ;   in Loop: Header=BB7_15 Depth=1
	s_clause 0x1
	buffer_load_dword v0, off, s[0:3], 0 offset:2072
	buffer_load_dword v1, off, s[0:3], 0 offset:2076
	s_waitcnt vmcnt(0)
	flat_load_dword v0, v[0:1]
	s_waitcnt vmcnt(0) lgkmcnt(0)
	v_cmp_eq_u32_e32 vcc_lo, 0, v0
	v_cmp_ne_u32_e64 s4, 0, v0
	s_and_b32 s7, vcc_lo, exec_lo
	s_orn2_b32 s4, s4, exec_lo
.LBB7_130:                              ;   in Loop: Header=BB7_15 Depth=1
	s_or_b32 exec_lo, exec_lo, s5
	s_and_b32 s5, s7, exec_lo
	s_and_b32 s4, s4, exec_lo
.LBB7_131:                              ;   in Loop: Header=BB7_15 Depth=1
	s_andn2_saveexec_b32 s6, s6
; %bb.132:                              ;   in Loop: Header=BB7_15 Depth=1
	v_cmp_ne_u32_e32 vcc_lo, 0, v2
	s_andn2_b32 s4, s4, exec_lo
	s_or_b32 s5, s5, exec_lo
	s_and_b32 s7, vcc_lo, exec_lo
	s_or_b32 s4, s4, s7
; %bb.133:                              ;   in Loop: Header=BB7_15 Depth=1
	s_or_b32 exec_lo, exec_lo, s6
	s_mov_b32 s49, 0
	s_mov_b32 s53, -1
	s_mov_b32 s7, 0
	s_mov_b32 s50, 0
	;; [unrolled: 1-line block ×4, first 2 shown]
	s_and_saveexec_b32 s6, s4
	s_cbranch_execz .LBB7_148
; %bb.134:                              ;   in Loop: Header=BB7_15 Depth=1
	v_mov_b32_e32 v3, -1
	s_mov_b32 s4, 0
	s_mov_b32 s12, -1
	s_mov_b32 s8, -1
	s_mov_b32 s9, exec_lo
	v_cmpx_lt_i32_e32 0, v2
	s_cbranch_execz .LBB7_138
; %bb.135:                              ;   in Loop: Header=BB7_15 Depth=1
	buffer_load_dword v1, v43, s[0:3], 0 offen offset:44
	v_mov_b32_e32 v3, -1
	s_mov_b32 s7, exec_lo
	s_waitcnt vmcnt(0)
	v_add_nc_u32_e32 v0, v1, v2
	v_cmpx_gt_i32_e32 0x2001, v0
	s_cbranch_execz .LBB7_137
; %bb.136:                              ;   in Loop: Header=BB7_15 Depth=1
	v_lshlrev_b32_e32 v1, 2, v1
	s_mov_b32 s10, exec_lo
	buffer_store_dword v0, v43, s[0:3], 0 offen offset:44
	v_add3_u32 v3, 0x1050, v1, 4
.LBB7_137:                              ;   in Loop: Header=BB7_15 Depth=1
	s_or_b32 exec_lo, exec_lo, s7
	s_mov_b32 s7, exec_lo
	s_xor_b32 s8, exec_lo, -1
	s_orn2_b32 s12, s10, exec_lo
.LBB7_138:                              ;   in Loop: Header=BB7_15 Depth=1
	s_or_b32 exec_lo, exec_lo, s9
	s_mov_b32 s10, 0
	s_and_saveexec_b32 s9, s12
	s_cbranch_execz .LBB7_147
; %bb.139:                              ;   in Loop: Header=BB7_15 Depth=1
	s_mov_b32 s12, -1
	s_mov_b32 s10, exec_lo
	v_cmpx_ne_u32_e32 -1, v3
	s_cbranch_execz .LBB7_146
; %bb.140:                              ;   in Loop: Header=BB7_15 Depth=1
	s_mov_b32 s11, exec_lo
	v_cmpx_lt_i32_e32 0, v2
	s_cbranch_execz .LBB7_145
; %bb.141:                              ;   in Loop: Header=BB7_15 Depth=1
	s_clause 0x1
	buffer_load_dword v0, off, s[0:3], 0 offset:2072
	buffer_load_dword v1, off, s[0:3], 0 offset:2076
	v_mov_b32_e32 v4, v2
	v_mov_b32_e32 v5, v3
	s_mov_b32 s12, 0
.LBB7_142:                              ;   Parent Loop BB7_15 Depth=1
                                        ; =>  This Inner Loop Header: Depth=2
	s_waitcnt vmcnt(0)
	flat_load_dword v6, v[0:1]
	v_add_nc_u32_e32 v4, -1, v4
	v_add_co_u32 v0, vcc_lo, v0, 4
	v_add_co_ci_u32_e64 v1, null, 0, v1, vcc_lo
	v_cmp_eq_u32_e64 s4, 0, v4
	s_or_b32 s12, s4, s12
	s_waitcnt vmcnt(0) lgkmcnt(0)
	buffer_store_dword v6, v5, s[0:3], 0 offen
	v_add_nc_u32_e32 v5, 4, v5
	s_andn2_b32 exec_lo, exec_lo, s12
	s_cbranch_execnz .LBB7_142
; %bb.143:                              ;   in Loop: Header=BB7_15 Depth=1
	s_or_b32 exec_lo, exec_lo, s12
	v_mov_b32_e32 v0, v2
	v_readlane_b32 s12, v78, 31
	s_mov_b32 s4, 0
.LBB7_144:                              ;   Parent Loop BB7_15 Depth=1
                                        ; =>  This Inner Loop Header: Depth=2
	buffer_load_dword v1, v3, s[0:3], 0 offen
	v_add_nc_u32_e32 v0, -1, v0
	v_mov_b32_e32 v4, s12
	v_add_nc_u32_e32 v3, 4, v3
	s_add_i32 s12, s12, 4
	v_cmp_eq_u32_e32 vcc_lo, 0, v0
	s_or_b32 s4, vcc_lo, s4
	s_waitcnt vmcnt(0)
	buffer_store_dword v1, v4, s[0:3], 0 offen
	s_andn2_b32 exec_lo, exec_lo, s4
	s_cbranch_execnz .LBB7_144
.LBB7_145:                              ;   in Loop: Header=BB7_15 Depth=1
	s_or_b32 exec_lo, exec_lo, s11
	buffer_load_dword v0, v43, s[0:3], 0 offen offset:44
	s_mov_b32 s11, exec_lo
	s_xor_b32 s12, exec_lo, -1
	s_waitcnt vmcnt(0)
	v_cmp_ge_i32_e32 vcc_lo, v0, v2
	s_and_b32 s4, vcc_lo, exec_lo
.LBB7_146:                              ;   in Loop: Header=BB7_15 Depth=1
	s_or_b32 exec_lo, exec_lo, s10
	s_andn2_b32 s8, s8, exec_lo
	s_and_b32 s11, s11, exec_lo
	s_and_b32 s10, s12, exec_lo
	s_andn2_b32 s7, s7, exec_lo
	s_and_b32 s4, s4, exec_lo
.LBB7_147:                              ;   in Loop: Header=BB7_15 Depth=1
	s_or_b32 exec_lo, exec_lo, s9
	s_orn2_b32 s53, s8, exec_lo
	s_and_b32 s51, s11, exec_lo
	s_and_b32 s52, s10, exec_lo
	;; [unrolled: 1-line block ×4, first 2 shown]
	s_andn2_b32 s5, s5, exec_lo
.LBB7_148:                              ;   in Loop: Header=BB7_15 Depth=1
	s_or_b32 exec_lo, exec_lo, s6
	s_and_saveexec_b32 s4, s5
	s_cbranch_execz .LBB7_150
; %bb.149:                              ;   in Loop: Header=BB7_15 Depth=1
	buffer_load_dword v0, v43, s[0:3], 0 offen offset:44
	s_andn2_b32 s5, s7, exec_lo
	s_mov_b32 s49, exec_lo
	s_andn2_b32 s53, s53, exec_lo
	s_andn2_b32 s51, s51, exec_lo
	s_andn2_b32 s52, s52, exec_lo
	s_andn2_b32 s50, s50, exec_lo
	buffer_store_dword v61, v43, s[0:3], 0 offen offset:48
	s_waitcnt vmcnt(0)
	v_cmp_ge_i32_e32 vcc_lo, v0, v2
	s_and_b32 s6, vcc_lo, exec_lo
	s_or_b32 s7, s5, s6
.LBB7_150:                              ;   in Loop: Header=BB7_15 Depth=1
	s_or_b32 exec_lo, exec_lo, s4
	s_mov_b32 s5, -1
	s_mov_b32 s4, 0
	s_mov_b32 s6, 0
	;; [unrolled: 1-line block ×11, first 2 shown]
	s_and_saveexec_b32 s64, s7
	s_cbranch_execz .LBB7_5
; %bb.151:                              ;   in Loop: Header=BB7_15 Depth=1
	v_mov_b32_e32 v0, 0x9058
	s_mov_b32 s82, 0
	s_mov_b32 s5, exec_lo
	buffer_store_dword v2, v43, s[0:3], 0 offen offset:44
	buffer_store_dword v40, v0, s[0:3], 0 offen offset:2056
	v_cmpx_lt_i32_e32 0, v2
	s_xor_b32 s5, exec_lo, s5
	s_cbranch_execz .LBB7_157
; %bb.152:                              ;   in Loop: Header=BB7_15 Depth=1
	s_mov_b32 s4, -1
	s_mov_b32 s7, 0
	s_mov_b32 s6, exec_lo
	v_cmpx_eq_u32_e32 1, v2
	s_cbranch_execz .LBB7_156
; %bb.153:                              ;   in Loop: Header=BB7_15 Depth=1
	buffer_load_dword v0, v43, s[0:3], 0 offen offset:48
	s_waitcnt vmcnt(0)
	v_cmp_eq_u32_e64 s4, 0, v0
	v_cmp_ne_u32_e32 vcc_lo, 0, v0
	s_and_saveexec_b32 s8, s4
	s_xor_b32 s4, exec_lo, s8
	s_cbranch_execz .LBB7_155
; %bb.154:                              ;   in Loop: Header=BB7_15 Depth=1
	v_mov_b32_e32 v1, 0x9058
	v_lshl_add_u32 v0, v40, 3, 0x9860
	s_mov_b32 s7, exec_lo
	buffer_store_dword v63, v1, s[0:3], 0 offen offset:2056
	buffer_store_dword v45, v0, s[0:3], 0 offen offset:12
	buffer_store_dword v46, v0, s[0:3], 0 offen offset:8
.LBB7_155:                              ;   in Loop: Header=BB7_15 Depth=1
	s_or_b32 exec_lo, exec_lo, s4
	s_and_b32 s7, s7, exec_lo
	s_orn2_b32 s4, vcc_lo, exec_lo
.LBB7_156:                              ;   in Loop: Header=BB7_15 Depth=1
	s_or_b32 exec_lo, exec_lo, s6
	s_and_b32 s82, s7, exec_lo
	s_and_b32 s4, s4, exec_lo
.LBB7_157:                              ;   in Loop: Header=BB7_15 Depth=1
	s_andn2_saveexec_b32 s5, s5
; %bb.158:                              ;   in Loop: Header=BB7_15 Depth=1
	v_cmp_ne_u32_e32 vcc_lo, 0, v2
	s_andn2_b32 s4, s4, exec_lo
	s_mov_b32 s18, exec_lo
	s_and_b32 s6, vcc_lo, exec_lo
	s_or_b32 s4, s4, s6
; %bb.159:                              ;   in Loop: Header=BB7_15 Depth=1
	s_or_b32 exec_lo, exec_lo, s5
	v_mov_b32_e32 v6, v63
	s_mov_b32 s7, 0
	s_mov_b32 s9, s50
	;; [unrolled: 1-line block ×7, first 2 shown]
	s_and_saveexec_b32 s19, s4
	s_cbranch_execz .LBB7_181
; %bb.160:                              ;   in Loop: Header=BB7_15 Depth=1
	v_mov_b32_e32 v0, -1
	s_mov_b32 s5, -1
	s_mov_b32 s8, 0
	s_mov_b32 s16, s50
	;; [unrolled: 1-line block ×7, first 2 shown]
	s_mov_b32 s4, exec_lo
	buffer_store_dword v61, v43, s[0:3], 0 offen offset:16
	v_cmpx_lt_i32_e32 0, v2
	s_cbranch_execz .LBB7_164
; %bb.161:                              ;   in Loop: Header=BB7_15 Depth=1
	v_mov_b32_e32 v0, -1
	s_mov_b32 s5, 0
	s_mov_b32 s6, exec_lo
	v_cmpx_gt_u32_e32 0x1001, v2
	s_cbranch_execz .LBB7_163
; %bb.162:                              ;   in Loop: Header=BB7_15 Depth=1
	v_lshl_add_u32 v0, v2, 3, 0x1050
	v_lshlrev_b32_e32 v1, 2, v2
	s_mov_b32 s5, exec_lo
	v_sub_nc_u32_e32 v0, v0, v1
	v_lshlrev_b32_e32 v1, 1, v2
	v_add_nc_u32_e32 v0, 4, v0
	buffer_store_dword v1, v43, s[0:3], 0 offen offset:44
.LBB7_163:                              ;   in Loop: Header=BB7_15 Depth=1
	s_or_b32 exec_lo, exec_lo, s6
	s_mov_b32 s12, exec_lo
	s_andn2_b32 s15, s53, exec_lo
	s_andn2_b32 s22, s49, exec_lo
	;; [unrolled: 1-line block ×5, first 2 shown]
	s_orn2_b32 s5, s5, exec_lo
.LBB7_164:                              ;   in Loop: Header=BB7_15 Depth=1
	s_or_b32 exec_lo, exec_lo, s4
	s_mov_b32 s4, s82
	s_mov_b32 s11, 0
                                        ; implicit-def: $vgpr6
	s_and_saveexec_b32 s26, s5
	s_cbranch_execz .LBB7_180
; %bb.165:                              ;   in Loop: Header=BB7_15 Depth=1
	v_readlane_b32 s4, v78, 3
	v_cmp_ne_u32_e32 vcc_lo, -1, v0
	v_readlane_b32 s5, v78, 4
	s_mov_b32 s4, exec_lo
	v_cndmask_b32_e32 v3, 0, v0, vcc_lo
	v_cndmask_b32_e64 v1, 0, s5, vcc_lo
	buffer_store_dword v1, v43, s[0:3], 0 offen offset:24
	buffer_store_dword v3, v43, s[0:3], 0 offen offset:20
	v_cmpx_lt_i32_e32 0, v2
	s_cbranch_execz .LBB7_169
; %bb.166:                              ;   in Loop: Header=BB7_15 Depth=1
	v_mov_b32_e32 v1, v2
	v_readlane_b32 s6, v78, 31
	s_mov_b32 s5, 0
.LBB7_167:                              ;   Parent Loop BB7_15 Depth=1
                                        ; =>  This Inner Loop Header: Depth=2
	v_mov_b32_e32 v3, s6
	v_add_nc_u32_e32 v1, -1, v1
	s_add_i32 s6, s6, 4
	buffer_load_dword v3, v3, s[0:3], 0 offen
	v_cmp_eq_u32_e32 vcc_lo, 0, v1
	s_or_b32 s5, vcc_lo, s5
	s_waitcnt vmcnt(0)
	v_lshrrev_b32_e32 v4, 1, v3
	v_or_b32_e32 v4, v4, v3
	v_and_b32_e32 v4, 0x55555555, v4
	v_lshl_add_u32 v4, v4, 1, v4
	v_xor_b32_e32 v3, v4, v3
	buffer_store_dword v3, v0, s[0:3], 0 offen
	v_add_nc_u32_e32 v0, 4, v0
	s_andn2_b32 exec_lo, exec_lo, s5
	s_cbranch_execnz .LBB7_167
; %bb.168:                              ;   in Loop: Header=BB7_15 Depth=1
	s_or_b32 exec_lo, exec_lo, s5
	buffer_store_dword v2, v43, s[0:3], 0 offen offset:16
.LBB7_169:                              ;   in Loop: Header=BB7_15 Depth=1
	v_writelane_b32 v76, s26, 15
	v_writelane_b32 v76, s15, 16
	;; [unrolled: 1-line block ×16, first 2 shown]
	s_or_b32 exec_lo, exec_lo, s4
	v_readlane_b32 s6, v78, 3
	v_readlane_b32 s7, v78, 4
	v_lshlrev_b32_e32 v2, 1, v40
	v_mov_b32_e32 v0, 0x1030
	v_mov_b32_e32 v3, 0x1050
	;; [unrolled: 1-line block ×6, first 2 shown]
	s_add_u32 s8, s54, 0x80
	s_addc_u32 s9, s55, 0
	s_getpc_b64 s[4:5]
	s_add_u32 s4, s4, _ZN3sop12sopFactorRecEPNS_3SopEiP7VecsMemIjLi8192EEPN8subgUtil4SubgILi256EEE@rel32@lo+4
	s_addc_u32 s5, s5, _ZN3sop12sopFactorRecEPNS_3SopEiP7VecsMemIjLi8192EEPN8subgUtil4SubgILi256EEE@rel32@hi+12
	s_swappc_b64 s[30:31], s[4:5]
	v_mov_b32_e32 v1, 0x9058
	v_readlane_b32 s20, v76, 21
	v_readlane_b32 s21, v76, 20
	;; [unrolled: 1-line block ×4, first 2 shown]
	buffer_load_dword v6, v1, s[0:3], 0 offen offset:2056
	v_readlane_b32 s22, v76, 19
	v_readlane_b32 s25, v76, 16
	v_ashrrev_i32_e32 v1, 1, v0
	s_mov_b32 s12, 0
	s_mov_b32 s10, s82
	;; [unrolled: 1-line block ×9, first 2 shown]
	s_mov_b32 s13, exec_lo
	v_cmpx_ge_i32_e64 v1, v40
	v_readlane_b32 s48, v76, 30
	v_readlane_b32 s64, v76, 24
	;; [unrolled: 1-line block ×5, first 2 shown]
	s_xor_b32 s13, exec_lo, s13
	s_cbranch_execz .LBB7_173
; %bb.170:                              ;   in Loop: Header=BB7_15 Depth=1
	s_waitcnt vmcnt(0)
	v_lshl_add_u32 v2, v6, 3, 0x9860
	s_mov_b32 s5, s82
	s_clause 0x1
	buffer_load_dword v0, v2, s[0:3], 0 offen
	buffer_load_dword v1, v2, s[0:3], 0 offen offset:4
	s_waitcnt vmcnt(1)
	v_lshrrev_b32_e32 v3, 1, v0
	s_waitcnt vmcnt(0)
	v_cmp_lt_i64_e32 vcc_lo, -1, v[0:1]
	v_cmp_ge_i32_e64 s4, v3, v1
	s_and_b32 s4, vcc_lo, s4
	s_and_saveexec_b32 s6, s4
	s_xor_b32 s4, exec_lo, s6
	s_cbranch_execz .LBB7_172
; %bb.171:                              ;   in Loop: Header=BB7_15 Depth=1
	v_xor_b32_e32 v0, 1, v0
	buffer_store_dword v1, v2, s[0:3], 0 offen offset:4
	s_or_b32 s5, s82, exec_lo
	buffer_store_dword v0, v2, s[0:3], 0 offen
.LBB7_172:                              ;   in Loop: Header=BB7_15 Depth=1
	s_or_b32 exec_lo, exec_lo, s4
	s_andn2_b32 s10, s82, exec_lo
	s_and_b32 s14, s5, exec_lo
	s_mov_b32 s8, exec_lo
	s_andn2_b32 s11, s25, exec_lo
	s_andn2_b32 s9, s22, exec_lo
	;; [unrolled: 1-line block ×6, first 2 shown]
	s_or_b32 s10, s10, s14
                                        ; implicit-def: $vgpr1
                                        ; implicit-def: $vgpr0
.LBB7_173:                              ;   in Loop: Header=BB7_15 Depth=1
	s_or_saveexec_b32 s13, s13
	v_readlane_b32 s54, v77, 6
	v_readlane_b32 s55, v77, 7
	;; [unrolled: 1-line block ×9, first 2 shown]
	s_mov_b32 s14, 0
	s_xor_b32 exec_lo, exec_lo, s13
	s_cbranch_execz .LBB7_179
; %bb.174:                              ;   in Loop: Header=BB7_15 Depth=1
	s_mov_b32 s16, -1
	s_mov_b32 s15, s10
	s_mov_b32 s12, exec_lo
	s_waitcnt vmcnt(0)
	v_cmpx_eq_u32_e64 v6, v40
	s_cbranch_execz .LBB7_178
; %bb.175:                              ;   in Loop: Header=BB7_15 Depth=1
	v_ashrrev_i32_e32 v2, 31, v1
	s_mov_b32 s15, s10
	s_mov_b32 s14, exec_lo
	v_lshlrev_b64 v[1:2], 2, v[1:2]
	v_add_co_u32 v1, vcc_lo, v89, v1
	v_add_co_ci_u32_e64 v2, null, v90, v2, vcc_lo
	global_load_dword v1, v[1:2], off
	s_waitcnt vmcnt(0)
	v_lshlrev_b32_e32 v1, 1, v1
	v_cmpx_lt_i32_e32 -1, v1
	s_xor_b32 s14, exec_lo, s14
	s_cbranch_execz .LBB7_177
; %bb.176:                              ;   in Loop: Header=BB7_15 Depth=1
	v_bfi_b32 v0, v0, 0, 1
	v_lshl_add_u32 v2, v40, 3, 0x9860
	v_mov_b32_e32 v3, 0x9058
	s_or_b32 s15, s10, exec_lo
	v_or_b32_e32 v1, v1, v0
	buffer_store_dword v63, v3, s[0:3], 0 offen offset:2056
	buffer_store_dword v1, v2, s[0:3], 0 offen offset:12
	v_lshl_or_b32 v0, v1, 1, v0
	buffer_store_dword v0, v2, s[0:3], 0 offen offset:8
.LBB7_177:                              ;   in Loop: Header=BB7_15 Depth=1
	s_or_b32 exec_lo, exec_lo, s14
	s_andn2_b32 s17, s10, exec_lo
	s_and_b32 s15, s15, exec_lo
	s_mov_b32 s14, exec_lo
	s_xor_b32 s16, exec_lo, -1
	s_or_b32 s15, s17, s15
.LBB7_178:                              ;   in Loop: Header=BB7_15 Depth=1
	s_or_b32 exec_lo, exec_lo, s12
	s_andn2_b32 s10, s10, exec_lo
	s_and_b32 s15, s15, exec_lo
	s_andn2_b32 s11, s11, exec_lo
	s_and_b32 s14, s14, exec_lo
	s_and_b32 s12, s16, exec_lo
	s_andn2_b32 s8, s8, exec_lo
	s_andn2_b32 s9, s9, exec_lo
	;; [unrolled: 1-line block ×5, first 2 shown]
	v_mov_b32_e32 v6, v63
	s_andn2_b32 s5, s5, exec_lo
	s_or_b32 s10, s10, s15
.LBB7_179:                              ;   in Loop: Header=BB7_15 Depth=1
	s_or_b32 exec_lo, exec_lo, s13
	s_andn2_b32 s13, s25, exec_lo
	s_and_b32 s11, s11, exec_lo
	s_and_b32 s9, s9, exec_lo
	s_or_b32 s15, s13, s11
	s_and_b32 s13, s14, exec_lo
	s_and_b32 s11, s12, exec_lo
	s_andn2_b32 s12, s22, exec_lo
	s_andn2_b32 s14, s24, exec_lo
	s_and_b32 s7, s7, exec_lo
	s_or_b32 s12, s12, s9
	s_or_b32 s22, s14, s7
	s_andn2_b32 s7, s23, exec_lo
	s_and_b32 s6, s6, exec_lo
	s_andn2_b32 s9, s21, exec_lo
	s_and_b32 s4, s4, exec_lo
	s_or_b32 s17, s7, s6
	s_or_b32 s9, s9, s4
	s_andn2_b32 s4, s20, exec_lo
	s_and_b32 s5, s5, exec_lo
	s_andn2_b32 s6, s82, exec_lo
	s_and_b32 s7, s10, exec_lo
	s_and_b32 s8, s8, exec_lo
	s_or_b32 s16, s4, s5
	s_or_b32 s4, s6, s7
.LBB7_180:                              ;   in Loop: Header=BB7_15 Depth=1
	s_or_b32 exec_lo, exec_lo, s26
	s_andn2_b32 s5, s53, exec_lo
	s_and_b32 s6, s15, exec_lo
	s_and_b32 s14, s13, exec_lo
	s_or_b32 s15, s5, s6
	s_andn2_b32 s5, s49, exec_lo
	s_and_b32 s6, s22, exec_lo
	s_and_b32 s13, s11, exec_lo
	s_or_b32 s11, s5, s6
	s_andn2_b32 s5, s51, exec_lo
	s_and_b32 s6, s17, exec_lo
	s_and_b32 s10, s8, exec_lo
	;; [unrolled: 1-line block ×3, first 2 shown]
	s_andn2_b32 s8, s52, exec_lo
	s_and_b32 s9, s9, exec_lo
	s_or_b32 s12, s5, s6
	s_andn2_b32 s5, s50, exec_lo
	s_and_b32 s6, s16, exec_lo
	s_andn2_b32 s16, s82, exec_lo
	s_and_b32 s4, s4, exec_lo
	s_or_b32 s8, s8, s9
	s_or_b32 s9, s5, s6
	;; [unrolled: 1-line block ×3, first 2 shown]
	s_andn2_b32 s18, s18, exec_lo
.LBB7_181:                              ;   in Loop: Header=BB7_15 Depth=1
	s_or_b32 exec_lo, exec_lo, s19
	s_and_saveexec_b32 s4, s18
	s_cbranch_execz .LBB7_183
; %bb.182:                              ;   in Loop: Header=BB7_15 Depth=1
	v_lshl_add_u32 v0, v40, 3, 0x9860
	s_waitcnt vmcnt(0)
	v_mov_b32_e32 v6, v63
	s_or_b32 s82, s82, exec_lo
	buffer_store_dword v61, v0, s[0:3], 0 offen offset:12
	buffer_store_dword v61, v0, s[0:3], 0 offen offset:8
	v_mov_b32_e32 v0, 0x9058
	buffer_store_dword v63, v0, s[0:3], 0 offen offset:2056
.LBB7_183:                              ;   in Loop: Header=BB7_15 Depth=1
	s_or_b32 exec_lo, exec_lo, s4
	s_mov_b32 s5, -1
	s_mov_b32 s4, 0
	s_mov_b32 s17, 0
	;; [unrolled: 1-line block ×7, first 2 shown]
	s_and_saveexec_b32 s16, s82
	s_cbranch_execz .LBB7_4
; %bb.184:                              ;   in Loop: Header=BB7_15 Depth=1
	s_waitcnt vmcnt(0)
	v_cmp_ne_u32_e64 s4, v6, v63
	s_mov_b32 s5, 0
	s_mov_b32 s6, exec_lo
	v_cmpx_eq_u32_e64 v6, v63
	s_cbranch_execz .LBB7_186
; %bb.185:                              ;   in Loop: Header=BB7_15 Depth=1
	v_lshl_add_u32 v0, v40, 3, 0x9860
	s_andn2_b32 s4, s4, exec_lo
	s_mov_b32 s17, exec_lo
	s_clause 0x1
	buffer_load_dword v1, v0, s[0:3], 0 offen offset:8
	buffer_load_dword v0, v0, s[0:3], 0 offen offset:12
	s_waitcnt vmcnt(1)
	v_lshrrev_b32_e32 v1, 1, v1
	s_waitcnt vmcnt(0)
	v_cmp_ne_u32_e32 vcc_lo, v1, v0
	s_and_b32 s18, vcc_lo, exec_lo
	s_or_b32 s4, s4, s18
.LBB7_186:                              ;   in Loop: Header=BB7_15 Depth=1
	s_or_b32 exec_lo, exec_lo, s6
	v_mov_b32_e32 v0, 0
	s_mov_b32 s19, s9
	s_mov_b32 s6, s8
	;; [unrolled: 1-line block ×10, first 2 shown]
	s_and_saveexec_b32 s18, s4
	s_cbranch_execz .LBB7_221
; %bb.187:                              ;   in Loop: Header=BB7_15 Depth=1
	v_cmp_lt_i32_e32 vcc_lo, 0, v40
	s_and_saveexec_b32 s5, vcc_lo
	v_readlane_b32 s24, v78, 17
	v_readlane_b32 s25, v78, 18
	;; [unrolled: 1-line block ×8, first 2 shown]
	s_cbranch_execz .LBB7_190
; %bb.188:                              ;   in Loop: Header=BB7_15 Depth=1
	v_mov_b32_e32 v0, v40
	s_movk_i32 s6, 0x410
	s_mov_b32 s19, 16
	s_mov_b32 s20, 0
.LBB7_189:                              ;   Parent Loop BB7_15 Depth=1
                                        ; =>  This Inner Loop Header: Depth=2
	global_load_dword v1, v[89:90], off
	v_mov_b32_e32 v2, s19
	v_add_nc_u32_e32 v0, -1, v0
	v_add_co_u32 v89, s4, v89, 4
	v_add_co_ci_u32_e64 v90, null, 0, v90, s4
	s_add_i32 s19, s19, 4
	s_waitcnt vmcnt(0)
	buffer_store_dword v1, v2, s[0:3], 0 offen
	v_ashrrev_i32_e32 v2, 31, v1
	v_lshlrev_b64 v[1:2], 2, v[1:2]
	v_add_co_u32 v1, vcc_lo, s24, v1
	v_add_co_ci_u32_e64 v2, null, s25, v2, vcc_lo
	v_cmp_eq_u32_e32 vcc_lo, 0, v0
	global_load_dword v1, v[1:2], off
	v_mov_b32_e32 v2, s6
	s_add_i32 s6, s6, 4
	s_or_b32 s20, vcc_lo, s20
	s_waitcnt vmcnt(0)
	buffer_store_dword v1, v2, s[0:3], 0 offen
	s_andn2_b32 exec_lo, exec_lo, s20
	s_cbranch_execnz .LBB7_189
.LBB7_190:                              ;   in Loop: Header=BB7_15 Depth=1
	s_or_b32 exec_lo, exec_lo, s5
	v_mov_b32_e32 v1, 0
	s_mov_b32 s29, -1
	s_mov_b32 s4, 0
	s_mov_b32 s28, s9
	;; [unrolled: 1-line block ×12, first 2 shown]
	s_mov_b32 s19, exec_lo
	v_cmpx_lt_i32_e64 v40, v6
	s_cbranch_execz .LBB7_218
; %bb.191:                              ;   in Loop: Header=BB7_15 Depth=1
	v_mov_b32_e32 v7, 0
	v_mov_b32_e32 v8, v40
                                        ; implicit-def: $sgpr23
                                        ; implicit-def: $sgpr22
                                        ; implicit-def: $sgpr20
                                        ; implicit-def: $sgpr21
                                        ; implicit-def: $sgpr27
                                        ; implicit-def: $sgpr25
                                        ; implicit-def: $sgpr26
                                        ; implicit-def: $sgpr28
                                        ; implicit-def: $sgpr29
	s_branch .LBB7_197
.LBB7_192:                              ;   in Loop: Header=BB7_197 Depth=2
	s_or_b32 exec_lo, exec_lo, s38
	s_andn2_b32 s33, s33, exec_lo
	s_and_b32 s37, s37, exec_lo
	s_andn2_b32 s34, s34, exec_lo
	s_or_b32 s33, s33, s37
	s_orn2_b32 s37, s36, exec_lo
.LBB7_193:                              ;   in Loop: Header=BB7_197 Depth=2
	s_or_b32 exec_lo, exec_lo, s35
	s_andn2_b32 s5, s5, exec_lo
	s_and_b32 s33, s33, exec_lo
	s_andn2_b32 s4, s4, exec_lo
	s_and_b32 s34, s34, exec_lo
	s_or_b32 s5, s5, s33
	s_or_b32 s4, s4, s34
	s_orn2_b32 s33, s37, exec_lo
.LBB7_194:                              ;   in Loop: Header=BB7_197 Depth=2
	s_or_b32 exec_lo, exec_lo, s6
	s_and_b32 s5, s5, exec_lo
	s_orn2_b32 s6, s4, exec_lo
	s_orn2_b32 s4, s33, exec_lo
.LBB7_195:                              ;   in Loop: Header=BB7_197 Depth=2
	s_or_b32 exec_lo, exec_lo, s31
	s_andn2_b32 s29, s29, exec_lo
	s_and_b32 s5, s5, exec_lo
	s_andn2_b32 s28, s28, exec_lo
	s_and_b32 s6, s6, exec_lo
	s_or_b32 s29, s29, s5
	s_andn2_b32 s5, s27, exec_lo
	s_and_b32 s4, s4, exec_lo
	s_or_b32 s28, s28, s6
	s_andn2_b32 s26, s26, exec_lo
	s_or_b32 s25, s25, exec_lo
	s_or_b32 s27, s5, s4
.LBB7_196:                              ;   in Loop: Header=BB7_197 Depth=2
	s_or_b32 exec_lo, exec_lo, s30
	s_xor_b32 s4, s29, -1
	s_xor_b32 s5, s28, -1
	s_and_b32 s6, exec_lo, s27
	s_or_b32 s24, s6, s24
	s_andn2_b32 s6, s21, exec_lo
	s_and_b32 s21, s26, exec_lo
	s_andn2_b32 s20, s20, exec_lo
	s_and_b32 s30, s25, exec_lo
	s_or_b32 s21, s6, s21
	s_andn2_b32 s6, s22, exec_lo
	s_and_b32 s4, s4, exec_lo
	s_andn2_b32 s23, s23, exec_lo
	s_and_b32 s5, s5, exec_lo
	s_or_b32 s20, s20, s30
	s_or_b32 s22, s6, s4
	;; [unrolled: 1-line block ×3, first 2 shown]
	s_andn2_b32 exec_lo, exec_lo, s24
	s_cbranch_execz .LBB7_215
.LBB7_197:                              ;   Parent Loop BB7_15 Depth=1
                                        ; =>  This Loop Header: Depth=2
                                        ;       Child Loop BB7_203 Depth 3
	v_lshl_add_u32 v0, v8, 3, 0x9860
	s_andn2_b32 s29, s29, exec_lo
	s_or_b32 s28, s28, exec_lo
	s_or_b32 s26, s26, exec_lo
	s_andn2_b32 s25, s25, exec_lo
	s_clause 0x1
	buffer_load_dword v1, v0, s[0:3], 0 offen offset:8
	buffer_load_dword v2, v0, s[0:3], 0 offen offset:12
	s_or_b32 s27, s27, exec_lo
	s_mov_b32 s30, exec_lo
	s_waitcnt vmcnt(1)
	v_lshrrev_b32_e32 v0, 1, v1
	s_waitcnt vmcnt(0)
	v_cmpx_gt_i32_e64 v0, v2
	s_cbranch_execz .LBB7_196
; %bb.198:                              ;   in Loop: Header=BB7_197 Depth=2
	v_ashrrev_i32_e32 v10, 1, v2
	v_lshrrev_b32_e32 v9, 2, v1
	s_mov_b32 s4, -1
	s_mov_b32 s5, 0
	s_mov_b32 s6, -1
	s_mov_b32 s31, exec_lo
	v_max_i32_e32 v0, v9, v10
	v_cmpx_lt_i32_e64 v0, v8
	s_cbranch_execz .LBB7_195
; %bb.199:                              ;   in Loop: Header=BB7_197 Depth=2
	v_lshl_add_u32 v0, v10, 2, 16
	v_lshl_add_u32 v4, v9, 2, 16
	s_mov_b32 s33, -1
	s_mov_b32 s35, -1
	s_clause 0x1
	buffer_load_dword v3, v0, s[0:3], 0 offen
	buffer_load_dword v4, v4, s[0:3], 0 offen
	v_mov_b32_e32 v0, -1
	s_waitcnt vmcnt(1)
	v_cmp_ne_u32_e32 vcc_lo, -1, v3
	s_waitcnt vmcnt(0)
	v_cmp_ne_u32_e64 s4, -1, v4
	s_and_b32 s6, vcc_lo, s4
	s_mov_b32 s4, -1
	s_and_saveexec_b32 s34, s6
	s_cbranch_execz .LBB7_209
; %bb.200:                              ;   in Loop: Header=BB7_197 Depth=2
	v_and_b32_e32 v0, 1, v2
	v_bfe_u32 v1, v1, 1, 1
	v_readlane_b32 s44, v77, 3
	v_readlane_b32 s45, v77, 4
	v_lshl_or_b32 v0, v3, 1, v0
	v_lshl_or_b32 v2, v4, 1, v1
	s_sub_u32 s6, 0, s44
	s_subb_u32 s35, 0, s45
	v_min_i32_e32 v1, v0, v2
	v_max_i32_e32 v0, v0, v2
	v_lshrrev_b32_e32 v2, 1, v1
	v_mul_lo_u32 v4, 0xed558ccd, v1
	v_xor_b32_e32 v2, v0, v2
	v_mul_lo_u32 v5, 0xff51afd7, v2
	v_mad_u64_u32 v[2:3], null, 0xed558ccd, v2, 0
	v_add3_u32 v3, v3, v5, v4
	v_lshrrev_b32_e32 v4, 1, v3
	v_xor_b32_e32 v2, v4, v2
	v_mul_lo_u32 v4, 0x1a85ec53, v3
	v_mul_lo_u32 v5, 0xc4ceb9fe, v2
	v_mad_u64_u32 v[2:3], null, 0x1a85ec53, v2, 0
	v_add3_u32 v4, v3, v5, v4
	v_lshrrev_b32_e32 v3, 1, v4
	v_xor_b32_e32 v5, v3, v2
	v_cvt_f32_u32_e32 v2, s44
	v_cvt_f32_u32_e32 v3, s45
	v_fmac_f32_e32 v2, 0x4f800000, v3
	v_rcp_f32_e32 v2, v2
	v_mul_f32_e32 v2, 0x5f7ffffc, v2
	v_mul_f32_e32 v3, 0x2f800000, v2
	v_trunc_f32_e32 v3, v3
	v_fmac_f32_e32 v2, 0xcf800000, v3
	v_cvt_u32_f32_e32 v3, v3
	v_cvt_u32_f32_e32 v2, v2
	v_readfirstlane_b32 s4, v3
	v_readfirstlane_b32 s5, v2
	s_mul_i32 s36, s6, s4
	s_mul_hi_u32 s38, s6, s5
	s_mul_i32 s37, s35, s5
	s_add_i32 s36, s38, s36
	s_mul_i32 s39, s6, s5
	s_add_i32 s36, s36, s37
	s_mul_hi_u32 s38, s5, s39
	s_mul_i32 s41, s5, s36
	s_mul_hi_u32 s40, s4, s39
	s_mul_i32 s37, s4, s39
	s_mul_hi_u32 s39, s5, s36
	s_add_u32 s38, s38, s41
	s_addc_u32 s39, 0, s39
	s_mul_hi_u32 s42, s4, s36
	s_add_u32 s37, s38, s37
	s_mul_i32 s36, s4, s36
	s_addc_u32 s37, s39, s40
	s_addc_u32 s38, s42, 0
	s_add_u32 s36, s37, s36
	s_addc_u32 s37, 0, s38
	s_add_u32 s5, s5, s36
	s_cselect_b32 s36, -1, 0
	s_mul_hi_u32 s38, s6, s5
	s_cmp_lg_u32 s36, 0
	s_mul_i32 s36, s6, s5
	s_addc_u32 s4, s4, s37
	s_mul_i32 s35, s35, s5
	s_mul_i32 s6, s6, s4
	s_mul_hi_u32 s37, s5, s36
	s_add_i32 s6, s38, s6
	s_mul_hi_u32 s38, s4, s36
	s_add_i32 s6, s6, s35
	s_mul_i32 s35, s4, s36
	s_mul_i32 s40, s5, s6
	s_mul_hi_u32 s39, s5, s6
	s_add_u32 s37, s37, s40
	s_addc_u32 s39, 0, s39
	s_mul_hi_u32 s36, s4, s6
	s_add_u32 s35, s37, s35
	s_mul_i32 s6, s4, s6
	s_addc_u32 s35, s39, s38
	s_addc_u32 s36, s36, 0
	s_add_u32 s6, s35, s6
	s_addc_u32 s35, 0, s36
	s_add_u32 s5, s5, s6
	s_cselect_b32 s6, -1, 0
	v_mul_hi_u32 v11, v5, s5
	s_cmp_lg_u32 s6, 0
	v_readlane_b32 s36, v78, 13
	s_addc_u32 s4, s4, s35
	v_readlane_b32 s37, v78, 14
	v_mad_u64_u32 v[2:3], null, v5, s4, 0
	v_readlane_b32 s38, v78, 15
	v_readlane_b32 s39, v78, 16
	v_add_co_u32 v11, vcc_lo, v11, v2
	v_add_co_ci_u32_e64 v12, null, 0, v3, vcc_lo
	v_mad_u64_u32 v[2:3], null, v4, s5, 0
	v_add_co_u32 v2, vcc_lo, v11, v2
	v_add_co_ci_u32_e32 v11, vcc_lo, v12, v3, vcc_lo
	v_mad_u64_u32 v[2:3], null, v4, s4, 0
	v_add_co_ci_u32_e32 v3, vcc_lo, 0, v3, vcc_lo
	v_add_co_u32 v2, s4, v11, v2
	v_add_co_ci_u32_e64 v3, null, 0, v3, s4
	v_mul_lo_u32 v12, s45, v2
	v_mul_lo_u32 v11, s44, v3
	v_mad_u64_u32 v[2:3], null, s44, v2, 0
	v_add3_u32 v3, v3, v11, v12
	v_sub_co_u32 v2, vcc_lo, v5, v2
	v_sub_co_ci_u32_e64 v5, null, v4, v3, vcc_lo
	v_cmp_le_u32_e64 s4, s44, v2
	v_sub_nc_u32_e32 v3, v4, v3
	v_cmp_le_u32_e64 s5, s45, v5
	v_cmp_eq_u32_e64 s6, s45, v5
	v_cndmask_b32_e64 v4, 0, -1, s4
	v_subrev_co_ci_u32_e64 v3, null, s45, v3, vcc_lo
	v_cndmask_b32_e64 v11, 0, -1, s5
	v_cndmask_b32_e64 v4, v11, v4, s6
	v_sub_co_u32 v11, vcc_lo, v2, s44
	v_subrev_co_ci_u32_e64 v12, null, 0, v3, vcc_lo
	v_subrev_co_ci_u32_e64 v3, null, s45, v3, vcc_lo
	v_cmp_le_u32_e64 s4, s44, v11
	v_cmp_le_u32_e64 s5, s45, v12
	v_cmp_eq_u32_e64 s6, s45, v12
	v_cndmask_b32_e64 v13, 0, -1, s4
	v_cndmask_b32_e64 v14, 0, -1, s5
	v_cmp_ne_u32_e64 s4, 0, v4
	v_sub_co_u32 v4, vcc_lo, v11, s44
	v_subrev_co_ci_u32_e64 v3, null, 0, v3, vcc_lo
	v_cndmask_b32_e64 v13, v14, v13, s6
	v_cmp_ne_u32_e64 s5, 0, v13
	v_cndmask_b32_e64 v3, v12, v3, s5
	v_cndmask_b32_e64 v4, v11, v4, s5
	s_mov_b32 s5, -1
	v_cndmask_b32_e64 v3, v5, v3, s4
	v_cndmask_b32_e64 v2, v2, v4, s4
	s_mov_b32 s4, exec_lo
	v_lshlrev_b64 v[4:5], 3, v[2:3]
	v_add_co_u32 v4, vcc_lo, s36, v4
	v_add_co_ci_u32_e64 v5, null, s37, v5, vcc_lo
	global_load_dwordx2 v[4:5], v[4:5], off
	s_waitcnt vmcnt(0)
	v_cmpx_ne_u64_e64 v[4:5], v[0:1]
	s_cbranch_execz .LBB7_206
; %bb.201:                              ;   in Loop: Header=BB7_197 Depth=2
	s_mov_b32 s5, 0
                                        ; implicit-def: $sgpr6
                                        ; implicit-def: $sgpr36
                                        ; implicit-def: $sgpr35
	s_inst_prefetch 0x1
	s_branch .LBB7_203
.LBB7_202:                              ;   in Loop: Header=BB7_203 Depth=3
	s_or_b32 exec_lo, exec_lo, s37
	s_xor_b32 s37, s35, -1
	s_and_b32 s38, exec_lo, s36
	s_or_b32 s5, s38, s5
	s_andn2_b32 s6, s6, exec_lo
	s_and_b32 s37, s37, exec_lo
	s_or_b32 s6, s6, s37
	s_andn2_b32 exec_lo, exec_lo, s5
	s_cbranch_execz .LBB7_205
.LBB7_203:                              ;   Parent Loop BB7_15 Depth=1
                                        ;     Parent Loop BB7_197 Depth=2
                                        ; =>    This Inner Loop Header: Depth=3
	v_cmp_ne_u64_e32 vcc_lo, -1, v[4:5]
	s_or_b32 s35, s35, exec_lo
	s_or_b32 s36, s36, exec_lo
                                        ; implicit-def: $vgpr4_vgpr5
	s_and_saveexec_b32 s37, vcc_lo
	s_cbranch_execz .LBB7_202
; %bb.204:                              ;   in Loop: Header=BB7_203 Depth=3
	v_add_co_u32 v2, vcc_lo, v2, 1
	v_readlane_b32 s38, v77, 3
	v_add_co_ci_u32_e64 v3, null, 0, v3, vcc_lo
	v_readlane_b32 s39, v77, 4
	v_readlane_b32 s40, v78, 13
	;; [unrolled: 1-line block ×3, first 2 shown]
	s_andn2_b32 s36, s36, exec_lo
	s_andn2_b32 s35, s35, exec_lo
	v_cmp_ne_u64_e32 vcc_lo, s[38:39], v[2:3]
	v_readlane_b32 s42, v78, 15
	v_readlane_b32 s43, v78, 16
	v_cndmask_b32_e32 v3, 0, v3, vcc_lo
	v_cndmask_b32_e32 v2, 0, v2, vcc_lo
	v_lshlrev_b64 v[4:5], 3, v[2:3]
	v_add_co_u32 v4, vcc_lo, s40, v4
	v_add_co_ci_u32_e64 v5, null, s41, v5, vcc_lo
	global_load_dwordx2 v[4:5], v[4:5], off
	s_waitcnt vmcnt(0)
	v_cmp_eq_u64_e32 vcc_lo, v[4:5], v[0:1]
	s_and_b32 s38, vcc_lo, exec_lo
	s_or_b32 s36, s36, s38
	s_branch .LBB7_202
.LBB7_205:                              ;   in Loop: Header=BB7_197 Depth=2
	s_inst_prefetch 0x2
	s_or_b32 exec_lo, exec_lo, s5
	s_orn2_b32 s5, s6, exec_lo
.LBB7_206:                              ;   in Loop: Header=BB7_197 Depth=2
	s_or_b32 exec_lo, exec_lo, s4
	v_mov_b32_e32 v0, -1
	s_and_saveexec_b32 s4, s5
	s_cbranch_execz .LBB7_208
; %bb.207:                              ;   in Loop: Header=BB7_197 Depth=2
	v_lshlrev_b64 v[0:1], 2, v[2:3]
	v_readlane_b32 s36, v78, 13
	v_readlane_b32 s38, v78, 15
	;; [unrolled: 1-line block ×4, first 2 shown]
	v_add_co_u32 v0, vcc_lo, s38, v0
	v_add_co_ci_u32_e64 v1, null, s39, v1, vcc_lo
	global_load_dword v0, v[0:1], off
.LBB7_208:                              ;   in Loop: Header=BB7_197 Depth=2
	s_or_b32 exec_lo, exec_lo, s4
	s_waitcnt vmcnt(0)
	v_cmp_ne_u32_e32 vcc_lo, v0, v88
	s_mov_b32 s5, exec_lo
	s_xor_b32 s4, exec_lo, -1
	s_orn2_b32 s35, vcc_lo, exec_lo
.LBB7_209:                              ;   in Loop: Header=BB7_197 Depth=2
	s_or_b32 exec_lo, exec_lo, s34
	s_and_saveexec_b32 s6, s35
	s_cbranch_execz .LBB7_194
; %bb.210:                              ;   in Loop: Header=BB7_197 Depth=2
	v_cmp_ne_u32_e64 s36, -1, v0
	s_mov_b32 s34, s4
	s_mov_b32 s33, s5
	s_mov_b32 s35, exec_lo
	v_cmpx_eq_u32_e32 -1, v0
; %bb.211:                              ;   in Loop: Header=BB7_197 Depth=2
	v_add_nc_u32_e32 v1, 1, v7
	v_cmp_lt_i32_e32 vcc_lo, v7, v57
	s_andn2_b32 s36, s36, exec_lo
	s_or_b32 s33, s5, exec_lo
	s_andn2_b32 s34, s4, exec_lo
	v_mov_b32_e32 v7, v1
	s_and_b32 s37, vcc_lo, exec_lo
	s_or_b32 s36, s36, s37
; %bb.212:                              ;   in Loop: Header=BB7_197 Depth=2
	s_or_b32 exec_lo, exec_lo, s35
	s_mov_b32 s37, -1
	s_and_saveexec_b32 s35, s36
	s_cbranch_execz .LBB7_193
; %bb.213:                              ;   in Loop: Header=BB7_197 Depth=2
	v_lshl_add_u32 v1, v10, 2, 0x410
	v_lshl_add_u32 v2, v9, 2, 0x410
	;; [unrolled: 1-line block ×3, first 2 shown]
	s_mov_b32 s36, -1
	s_mov_b32 s38, exec_lo
	s_clause 0x1
	buffer_load_dword v1, v1, s[0:3], 0 offen
	buffer_load_dword v2, v2, s[0:3], 0 offen
	s_waitcnt vmcnt(0)
	v_max_i32_e32 v1, v1, v2
	v_add_nc_u32_e32 v2, 1, v1
	buffer_store_dword v2, v3, s[0:3], 0 offen
	v_cmpx_gt_i32_e32 0x3b9aca00, v1
	s_cbranch_execz .LBB7_192
; %bb.214:                              ;   in Loop: Header=BB7_197 Depth=2
	v_lshl_add_u32 v1, v8, 2, 16
	v_add_nc_u32_e32 v8, 1, v8
	s_xor_b32 s37, exec_lo, -1
	buffer_store_dword v0, v1, s[0:3], 0 offen
	v_cmp_ge_i32_e32 vcc_lo, v8, v6
	s_orn2_b32 s36, vcc_lo, exec_lo
	s_branch .LBB7_192
.LBB7_215:                              ;   in Loop: Header=BB7_15 Depth=1
	s_or_b32 exec_lo, exec_lo, s24
	v_mov_b32_e32 v1, 0
	s_mov_b32 s29, 0
	s_mov_b32 s4, 0
	s_and_saveexec_b32 s5, s23
	s_xor_b32 s5, exec_lo, s5
; %bb.216:                              ;   in Loop: Header=BB7_15 Depth=1
	v_mov_b32_e32 v1, v7
	s_mov_b32 s4, exec_lo
	s_and_b32 s29, s22, exec_lo
; %bb.217:                              ;   in Loop: Header=BB7_15 Depth=1
	s_or_b32 exec_lo, exec_lo, s5
	s_andn2_b32 s27, s15, exec_lo
	s_and_b32 s24, s20, exec_lo
	s_and_b32 s5, s21, exec_lo
	s_andn2_b32 s25, s14, exec_lo
	s_andn2_b32 s26, s13, exec_lo
	;; [unrolled: 1-line block ×8, first 2 shown]
	s_and_b32 s4, s4, exec_lo
	s_orn2_b32 s29, s29, exec_lo
.LBB7_218:                              ;   in Loop: Header=BB7_15 Depth=1
	s_or_b32 exec_lo, exec_lo, s19
	v_mov_b32_e32 v0, -1
	s_and_saveexec_b32 s19, s29
	s_cbranch_execz .LBB7_220
; %bb.219:                              ;   in Loop: Header=BB7_15 Depth=1
	v_lshlrev_b32_e32 v0, 2, v6
	s_or_b32 s4, s4, exec_lo
	v_add3_u32 v0, 0x410, v0, -4
	buffer_load_dword v47, v0, s[0:3], 0 offen
	v_mov_b32_e32 v0, v1
.LBB7_220:                              ;   in Loop: Header=BB7_15 Depth=1
	s_or_b32 exec_lo, exec_lo, s19
	s_andn2_b32 s19, s15, exec_lo
	s_and_b32 s27, s27, exec_lo
	s_and_b32 s25, s25, exec_lo
	s_or_b32 s27, s19, s27
	s_andn2_b32 s19, s14, exec_lo
	s_and_b32 s26, s26, exec_lo
	s_or_b32 s25, s19, s25
	s_andn2_b32 s19, s13, exec_lo
	s_andn2_b32 s29, s10, exec_lo
	s_and_b32 s22, s22, exec_lo
	s_or_b32 s26, s19, s26
	s_andn2_b32 s19, s7, exec_lo
	s_and_b32 s23, s23, exec_lo
	s_or_b32 s22, s29, s22
	;; [unrolled: 3-line block ×5, first 2 shown]
	s_andn2_b32 s19, s9, exec_lo
	s_and_b32 s28, s28, exec_lo
	s_andn2_b32 s17, s17, exec_lo
	s_and_b32 s4, s4, exec_lo
	s_and_b32 s24, s24, exec_lo
	;; [unrolled: 1-line block ×3, first 2 shown]
	s_or_b32 s6, s29, s6
	s_or_b32 s19, s19, s28
	;; [unrolled: 1-line block ×3, first 2 shown]
.LBB7_221:                              ;   in Loop: Header=BB7_15 Depth=1
	s_or_b32 exec_lo, exec_lo, s18
	s_mov_b32 s28, -1
	s_mov_b32 s38, 0
	s_mov_b32 s39, 0
	s_mov_b32 s40, 0
	s_mov_b32 s41, 0
	s_mov_b32 s42, 0
	s_and_saveexec_b32 s18, s17
	s_cbranch_execz .LBB7_3
; %bb.222:                              ;   in Loop: Header=BB7_15 Depth=1
	v_ashrrev_i32_e32 v2, 31, v74
	s_mov_b32 s17, exec_lo
	v_cmpx_lt_i32_e32 -1, v0
	s_cbranch_execz .LBB7_234
; %bb.223:                              ;   in Loop: Header=BB7_15 Depth=1
	v_mov_b32_e32 v1, 1
	s_mov_b32 s28, exec_lo
	v_cmpx_ne_u32_e32 -1, v74
	s_cbranch_execz .LBB7_233
; %bb.224:                              ;   in Loop: Header=BB7_15 Depth=1
	s_mov_b32 s4, -1
	s_mov_b32 s29, exec_lo
	v_cmpx_ge_i32_e64 v0, v74
	s_cbranch_execz .LBB7_230
; %bb.225:                              ;   in Loop: Header=BB7_15 Depth=1
	s_mov_b32 s4, 0
	s_mov_b32 s30, exec_lo
	v_cmpx_eq_u32_e64 v0, v74
	s_cbranch_execz .LBB7_229
; %bb.226:                              ;   in Loop: Header=BB7_15 Depth=1
	v_lshl_add_u32 v1, v6, 3, 0x9860
	s_mov_b32 s34, 0
	s_mov_b32 s35, 2
	s_mov_b32 s31, exec_lo
	s_clause 0x1
	buffer_load_dword v0, v1, s[0:3], 0 offen
	buffer_load_dword v1, v1, s[0:3], 0 offen offset:4
	s_waitcnt vmcnt(0)
	v_cmpx_gt_u64_e64 s[34:35], v[0:1]
; %bb.227:                              ;   in Loop: Header=BB7_15 Depth=1
	v_lshrrev_b32_e32 v3, 1, v0
	v_and_b32_e32 v0, 1, v0
	v_cmp_eq_u32_e32 vcc_lo, v3, v1
	v_cmp_eq_u32_e64 s4, v0, v1
	s_and_b32 s4, vcc_lo, s4
	s_and_b32 s4, s4, exec_lo
; %bb.228:                              ;   in Loop: Header=BB7_15 Depth=1
	s_or_b32 exec_lo, exec_lo, s31
	v_cmp_lt_i32_e32 vcc_lo, v47, v56
	s_or_b32 s4, s4, vcc_lo
	s_and_b32 s4, s4, exec_lo
.LBB7_229:                              ;   in Loop: Header=BB7_15 Depth=1
	s_or_b32 exec_lo, exec_lo, s30
	s_orn2_b32 s4, s4, exec_lo
.LBB7_230:                              ;   in Loop: Header=BB7_15 Depth=1
	s_or_b32 exec_lo, exec_lo, s29
	s_and_saveexec_b32 s29, s4
; %bb.231:                              ;   in Loop: Header=BB7_15 Depth=1
	v_mov_b32_e32 v2, 1
; %bb.232:                              ;   in Loop: Header=BB7_15 Depth=1
	s_or_b32 exec_lo, exec_lo, s29
	v_mov_b32_e32 v1, v2
.LBB7_233:                              ;   in Loop: Header=BB7_15 Depth=1
	s_or_b32 exec_lo, exec_lo, s28
	v_mov_b32_e32 v2, v1
.LBB7_234:                              ;   in Loop: Header=BB7_15 Depth=1
	s_or_b32 exec_lo, exec_lo, s17
	s_mov_b32 s43, 0
	s_mov_b32 s4, s19
	;; [unrolled: 1-line block ×12, first 2 shown]
	s_mov_b32 s17, exec_lo
	v_cmpx_ne_u32_e32 -1, v2
	s_xor_b32 s17, exec_lo, s17
	s_cbranch_execz .LBB7_254
; %bb.235:                              ;   in Loop: Header=BB7_15 Depth=1
	v_mov_b32_e32 v1, 0x9058
	v_cmp_eq_u32_e32 vcc_lo, 0, v2
	v_mov_b32_e32 v2, 0x9058
	v_readlane_b32 s36, v78, 17
	v_readlane_b32 s42, v78, 23
	buffer_load_dword v0, v1, s[0:3], 0 offen
	v_readlane_b32 s43, v78, 24
	buffer_load_dword v1, v2, s[0:3], 0 offen offset:2056
	s_mov_b32 s29, -1
	s_mov_b32 s30, 0
	s_mov_b32 s31, 0
	;; [unrolled: 1-line block ×3, first 2 shown]
	s_mov_b32 s28, exec_lo
	v_readlane_b32 s37, v78, 18
	v_readlane_b32 s38, v78, 19
	;; [unrolled: 1-line block ×5, first 2 shown]
	s_waitcnt vmcnt(0)
	v_cndmask_b32_e32 v5, v1, v0, vcc_lo
	v_add_co_u32 v0, s4, s42, v72
	v_add_co_ci_u32_e64 v1, null, s43, v73, s4
	v_sub_nc_u32_e32 v2, v5, v40
	s_mov_b32 s43, 0
	global_store_dword v[0:1], v2, off
	v_cmpx_lt_i32_e32 0, v2
	s_cbranch_execz .LBB7_253
; %bb.236:                              ;   in Loop: Header=BB7_15 Depth=1
	v_readlane_b32 s36, v78, 17
	v_readlane_b32 s40, v78, 21
	;; [unrolled: 1-line block ×3, first 2 shown]
	s_mov_b32 s30, -1
	s_mov_b32 s34, 0
	s_mov_b32 s35, 0
	v_add_co_u32 v0, s4, s40, v72
	v_add_co_ci_u32_e64 v1, null, s41, v73, s4
	s_mov_b32 s36, 0
	s_mov_b32 s29, exec_lo
	v_readlane_b32 s37, v78, 18
	global_load_dword v2, v[0:1], off
	v_readlane_b32 s38, v78, 19
	v_readlane_b32 s39, v78, 20
	;; [unrolled: 1-line block ×4, first 2 shown]
	s_waitcnt vmcnt(0)
	v_cmpx_eq_u32_e32 -1, v2
	s_cbranch_execz .LBB7_252
; %bb.237:                              ;   in Loop: Header=BB7_15 Depth=1
	s_mov_b32 s31, -1
	s_mov_b32 s34, -1
	s_mov_b32 s30, exec_lo
	global_store_dword v[0:1], v61, off
	v_cmpx_gt_i32_e64 v5, v40
	s_cbranch_execz .LBB7_251
; %bb.238:                              ;   in Loop: Header=BB7_15 Depth=1
	v_readlane_b32 s4, v77, 0
	v_mov_b32_e32 v1, 0
                                        ; implicit-def: $sgpr33
                                        ; implicit-def: $sgpr34
                                        ; implicit-def: $sgpr31
                                        ; implicit-def: $sgpr35
                                        ; implicit-def: $sgpr36
	v_cndmask_b32_e32 v0, s4, v44, vcc_lo
	s_mov_b32 s4, 0
	v_lshl_add_u32 v6, v40, 3, v0
	v_mov_b32_e32 v0, v62
	s_branch .LBB7_240
.LBB7_239:                              ;   in Loop: Header=BB7_240 Depth=2
	s_or_b32 exec_lo, exec_lo, s38
	s_xor_b32 s38, s40, -1
	s_and_b32 s37, exec_lo, s37
	s_or_b32 s4, s37, s4
	s_andn2_b32 s31, s31, exec_lo
	s_and_b32 s37, s38, exec_lo
	s_andn2_b32 s34, s34, exec_lo
	s_or_b32 s31, s31, s37
	s_and_b32 s37, s36, exec_lo
	s_andn2_b32 s33, s33, exec_lo
	s_and_b32 s38, s35, exec_lo
	s_or_b32 s34, s34, s37
	s_or_b32 s33, s33, s38
	s_andn2_b32 exec_lo, exec_lo, s4
	s_cbranch_execz .LBB7_250
.LBB7_240:                              ;   Parent Loop BB7_15 Depth=1
                                        ; =>  This Inner Loop Header: Depth=2
	s_mov_b32 s37, -1
	s_mov_b32 s39, -1
	s_mov_b32 s38, exec_lo
	v_cmpx_eq_u32_e32 8, v1
	s_cbranch_execz .LBB7_248
; %bb.241:                              ;   in Loop: Header=BB7_240 Depth=2
	s_mov_b32 s40, exec_lo
	s_mov_b32 s39, exec_lo
	v_mbcnt_lo_u32_b32 v1, s40, 0
                                        ; implicit-def: $vgpr2
	v_cmpx_eq_u32_e32 0, v1
	s_cbranch_execz .LBB7_243
; %bb.242:                              ;   in Loop: Header=BB7_240 Depth=2
	s_bcnt1_i32_b32 s40, s40
	v_mov_b32_e32 v2, s40
	v_readlane_b32 s40, v78, 27
	v_readlane_b32 s41, v78, 28
	;; [unrolled: 1-line block ×4, first 2 shown]
	global_atomic_add v2, v61, v2, s[40:41] glc
.LBB7_243:                              ;   in Loop: Header=BB7_240 Depth=2
	s_or_b32 exec_lo, exec_lo, s39
	s_waitcnt vmcnt(0)
	v_readfirstlane_b32 s39, v2
	s_mov_b32 s40, 0
	s_mov_b32 s42, -1
	s_mov_b32 s41, 0
	v_add_nc_u32_e32 v2, s39, v1
	v_readlane_b32 s39, v77, 2
	v_cmp_gt_i32_e32 vcc_lo, s39, v2
	s_and_saveexec_b32 s39, vcc_lo
	s_cbranch_execz .LBB7_247
; %bb.244:                              ;   in Loop: Header=BB7_240 Depth=2
	v_ashrrev_i32_e32 v3, 31, v2
	v_readlane_b32 s56, v78, 17
	v_readlane_b32 s60, v78, 21
	;; [unrolled: 1-line block ×3, first 2 shown]
	s_mov_b32 s41, exec_lo
	v_lshlrev_b64 v[3:4], 2, v[2:3]
	v_readlane_b32 s57, v78, 18
	v_readlane_b32 s58, v78, 19
	;; [unrolled: 1-line block ×5, first 2 shown]
	v_add_co_u32 v3, vcc_lo, s60, v3
	v_add_co_ci_u32_e64 v4, null, s61, v4, vcc_lo
	global_load_dword v1, v[3:4], off
	s_waitcnt vmcnt(0)
	v_cmpx_eq_u32_e32 -1, v1
	s_cbranch_execz .LBB7_246
; %bb.245:                              ;   in Loop: Header=BB7_240 Depth=2
	v_ashrrev_i32_e32 v1, 31, v0
	v_readlane_b32 s56, v78, 17
	v_readlane_b32 s60, v78, 21
	;; [unrolled: 1-line block ×3, first 2 shown]
	s_mov_b32 s40, exec_lo
	v_lshlrev_b64 v[0:1], 2, v[0:1]
	v_readlane_b32 s57, v78, 18
	v_readlane_b32 s58, v78, 19
	;; [unrolled: 1-line block ×5, first 2 shown]
	v_add_co_u32 v0, vcc_lo, s60, v0
	v_add_co_ci_u32_e64 v1, null, s61, v1, vcc_lo
	global_store_dword v[0:1], v2, off
	global_store_dword v[3:4], v61, off
.LBB7_246:                              ;   in Loop: Header=BB7_240 Depth=2
	s_or_b32 exec_lo, exec_lo, s41
	s_mov_b32 s41, exec_lo
	s_xor_b32 s42, exec_lo, -1
	s_and_b32 s40, s40, exec_lo
.LBB7_247:                              ;   in Loop: Header=BB7_240 Depth=2
	s_or_b32 exec_lo, exec_lo, s39
	v_mov_b32_e32 v1, 0
	v_mov_b32_e32 v0, v2
	s_andn2_b32 s36, s36, exec_lo
	s_and_b32 s39, s42, exec_lo
	s_andn2_b32 s35, s35, exec_lo
	s_and_b32 s41, s41, exec_lo
	s_or_b32 s36, s36, s39
	s_or_b32 s35, s35, s41
	s_orn2_b32 s39, s40, exec_lo
.LBB7_248:                              ;   in Loop: Header=BB7_240 Depth=2
	s_or_b32 exec_lo, exec_lo, s38
	s_mov_b32 s40, -1
	s_and_saveexec_b32 s38, s39
	s_cbranch_execz .LBB7_239
; %bb.249:                              ;   in Loop: Header=BB7_240 Depth=2
	s_clause 0x1
	buffer_load_dword v7, v6, s[0:3], 0 offen
	buffer_load_dword v8, v6, s[0:3], 0 offen offset:4
	v_lshl_add_u32 v2, v0, 3, v1
	v_readlane_b32 s56, v78, 17
	v_readlane_b32 s58, v78, 19
	;; [unrolled: 1-line block ×3, first 2 shown]
	v_add_nc_u32_e32 v40, 1, v40
	v_ashrrev_i32_e32 v3, 31, v2
	v_add_nc_u32_e32 v1, 1, v1
	v_add_nc_u32_e32 v6, 8, v6
	s_xor_b32 s40, exec_lo, -1
	v_readlane_b32 s57, v78, 18
	v_lshlrev_b64 v[2:3], 3, v[2:3]
	v_readlane_b32 s60, v78, 21
	v_readlane_b32 s61, v78, 22
	;; [unrolled: 1-line block ×4, first 2 shown]
	v_add_co_u32 v2, vcc_lo, s58, v2
	v_add_co_ci_u32_e64 v3, null, s59, v3, vcc_lo
	v_cmp_ge_i32_e32 vcc_lo, v40, v5
	s_orn2_b32 s37, vcc_lo, exec_lo
	s_waitcnt vmcnt(0)
	global_store_dwordx2 v[2:3], v[7:8], off
	s_branch .LBB7_239
.LBB7_250:                              ;   in Loop: Header=BB7_15 Depth=1
	s_or_b32 exec_lo, exec_lo, s4
	s_and_b32 s35, s33, exec_lo
	s_and_b32 s33, s34, exec_lo
	s_xor_b32 s34, exec_lo, -1
	s_orn2_b32 s31, s31, exec_lo
.LBB7_251:                              ;   in Loop: Header=BB7_15 Depth=1
	s_or_b32 exec_lo, exec_lo, s30
	s_and_b32 s36, s35, exec_lo
	s_and_b32 s35, s33, exec_lo
	s_orn2_b32 s30, s34, exec_lo
	s_and_b32 s34, s31, exec_lo
.LBB7_252:                              ;   in Loop: Header=BB7_15 Depth=1
	s_or_b32 exec_lo, exec_lo, s29
	s_and_b32 s33, s36, exec_lo
	s_and_b32 s31, s35, exec_lo
	;; [unrolled: 1-line block ×3, first 2 shown]
	s_xor_b32 s29, exec_lo, -1
	s_and_b32 s43, s34, exec_lo
.LBB7_253:                              ;   in Loop: Header=BB7_15 Depth=1
	s_or_b32 exec_lo, exec_lo, s28
	s_andn2_b32 s42, s27, exec_lo
	s_and_b32 s41, s33, exec_lo
	s_and_b32 s40, s31, exec_lo
	;; [unrolled: 1-line block ×4, first 2 shown]
	s_andn2_b32 s37, s24, exec_lo
	s_andn2_b32 s36, s5, exec_lo
	;; [unrolled: 1-line block ×10, first 2 shown]
	s_and_b32 s43, s43, exec_lo
                                        ; implicit-def: $vgpr72_vgpr73
.LBB7_254:                              ;   in Loop: Header=BB7_15 Depth=1
	s_andn2_saveexec_b32 s17, s17
	s_cbranch_execz .LBB7_256
; %bb.255:                              ;   in Loop: Header=BB7_15 Depth=1
	v_readlane_b32 s56, v78, 17
	v_readlane_b32 s62, v78, 23
	;; [unrolled: 1-line block ×3, first 2 shown]
	s_or_b32 s43, s43, exec_lo
	v_readlane_b32 s57, v78, 18
	v_readlane_b32 s58, v78, 19
	v_add_co_u32 v0, vcc_lo, s62, v72
	v_add_co_ci_u32_e64 v1, null, s63, v73, vcc_lo
	v_readlane_b32 s59, v78, 20
	v_readlane_b32 s60, v78, 21
	;; [unrolled: 1-line block ×3, first 2 shown]
	global_store_dword v[0:1], v61, off
.LBB7_256:                              ;   in Loop: Header=BB7_15 Depth=1
	s_or_b32 exec_lo, exec_lo, s17
	s_mov_b32 s17, -1
	s_mov_b32 s44, 0
	s_and_saveexec_b32 s45, s43
	s_cbranch_execz .LBB7_2
; %bb.257:                              ;   in Loop: Header=BB7_15 Depth=1
	v_readlane_b32 s17, v77, 5
	s_mov_b32 s44, exec_lo
	s_andn2_b32 s42, s42, exec_lo
	s_andn2_b32 s41, s41, exec_lo
	;; [unrolled: 1-line block ×3, first 2 shown]
	v_add_nc_u32_e32 v62, s17, v62
	v_readlane_b32 s17, v77, 1
	s_andn2_b32 s39, s39, exec_lo
	s_andn2_b32 s38, s38, exec_lo
	;; [unrolled: 1-line block ×4, first 2 shown]
	v_cmp_le_i32_e32 vcc_lo, s17, v62
	s_andn2_b32 s35, s35, exec_lo
	s_andn2_b32 s34, s34, exec_lo
	;; [unrolled: 1-line block ×8, first 2 shown]
	s_orn2_b32 s17, vcc_lo, exec_lo
	s_branch .LBB7_2
.LBB7_258:
	s_or_b32 exec_lo, exec_lo, s104
	s_mov_b32 s5, -1
	s_xor_b32 s4, s83, -1
	s_mov_b32 s6, 0
	s_mov_b32 s7, 0
	;; [unrolled: 1-line block ×28, first 2 shown]
	s_and_saveexec_b32 s21, s103
	v_readlane_b32 s52, v78, 2
	s_cbranch_execz .LBB7_318
; %bb.259:
	s_mov_b32 s7, -1
	s_mov_b32 s12, 0
	s_mov_b32 s23, 0
	;; [unrolled: 1-line block ×5, first 2 shown]
	s_and_saveexec_b32 s22, s102
	s_cbranch_execz .LBB7_317
; %bb.260:
	s_mov_b32 s6, -1
	s_mov_b32 s5, 0
	s_and_saveexec_b32 s23, s101
	s_cbranch_execz .LBB7_316
; %bb.261:
	s_and_saveexec_b32 s24, s100
	s_cbranch_execz .LBB7_315
; %bb.262:
	;; [unrolled: 3-line block ×9, first 2 shown]
	s_mov_b32 s36, exec_lo
	v_readlane_b32 s6, v77, 25
	s_and_b32 s6, s36, s6
	s_mov_b32 exec_lo, s6
	s_cbranch_execz .LBB7_307
; %bb.270:
	s_mov_b32 s6, -1
	s_mov_b32 s37, exec_lo
	v_readlane_b32 s7, v77, 24
	s_and_b32 s7, s37, s7
	s_mov_b32 exec_lo, s7
	s_cbranch_execz .LBB7_306
; %bb.271:
	s_mov_b32 s7, -1
	;; [unrolled: 7-line block ×9, first 2 shown]
	s_mov_b32 s45, exec_lo
	v_readlane_b32 s7, v77, 16
	s_and_b32 s7, s45, s7
	s_mov_b32 exec_lo, s7
	s_cbranch_execz .LBB7_298
; %bb.279:
	s_mov_b32 s33, s46
	s_mov_b32 s7, -1
	s_mov_b32 s46, exec_lo
	v_readlane_b32 s6, v77, 15
	s_and_b32 s6, s46, s6
	s_mov_b32 exec_lo, s6
	s_cbranch_execz .LBB7_297
; %bb.280:
	s_mov_b32 s6, -1
	s_mov_b32 s47, exec_lo
	v_readlane_b32 s7, v77, 14
	s_and_b32 s7, s47, s7
	s_mov_b32 exec_lo, s7
	s_cbranch_execz .LBB7_296
; %bb.281:
	;; [unrolled: 7-line block ×5, first 2 shown]
	s_mov_b32 s6, -1
	s_mov_b32 s7, 0
	s_mov_b32 s51, exec_lo
	v_readlane_b32 s8, v77, 10
	s_and_b32 s8, s51, s8
	s_mov_b32 exec_lo, s8
	s_cbranch_execz .LBB7_292
; %bb.285:
	s_mov_b32 s5, -1
	s_mov_b32 s6, 0
	s_and_saveexec_b32 s7, s33
	s_xor_b32 s52, exec_lo, s7
	s_cbranch_execz .LBB7_291
; %bb.286:
	s_and_saveexec_b32 s5, s4
	s_xor_b32 s53, exec_lo, s5
	s_cbranch_execz .LBB7_288
; %bb.287:
	s_mov_b64 s[4:5], s[54:55]
	v_mov_b32_e32 v4, 0xb8
	s_add_u32 s8, s4, 0x80
	s_addc_u32 s9, s5, 0
	s_getpc_b64 s[4:5]
	s_add_u32 s4, s4, .str.15@rel32@lo+4
	s_addc_u32 s5, s5, .str.15@rel32@hi+12
	s_getpc_b64 s[6:7]
	s_add_u32 s6, s6, .str.16@rel32@lo+4
	s_addc_u32 s7, s7, .str.16@rel32@hi+12
	s_getpc_b64 s[10:11]
	s_add_u32 s10, s10, __PRETTY_FUNCTION__._ZN3sop10minatoIsopEPKjiP7VecsMemIjLi8192EE@rel32@lo+4
	s_addc_u32 s11, s11, __PRETTY_FUNCTION__._ZN3sop10minatoIsopEPKjiP7VecsMemIjLi8192EE@rel32@hi+12
	v_mov_b32_e32 v0, s4
	v_mov_b32_e32 v1, s5
	;; [unrolled: 1-line block ×5, first 2 shown]
	s_waitcnt vmcnt(0)
	v_mov_b32_e32 v6, s11
	s_getpc_b64 s[12:13]
	s_add_u32 s12, s12, __assert_fail@rel32@lo+4
	s_addc_u32 s13, s13, __assert_fail@rel32@hi+12
	s_swappc_b64 s[30:31], s[12:13]
.LBB7_288:
	s_andn2_saveexec_b32 s53, s53
	s_cbranch_execz .LBB7_290
; %bb.289:
	s_mov_b64 s[4:5], s[54:55]
	v_mov_b32_e32 v4, 0xb8
	s_add_u32 s8, s4, 0x80
	s_addc_u32 s9, s5, 0
	s_getpc_b64 s[4:5]
	s_add_u32 s4, s4, .str.15@rel32@lo+4
	s_addc_u32 s5, s5, .str.15@rel32@hi+12
	s_getpc_b64 s[6:7]
	s_add_u32 s6, s6, .str.16@rel32@lo+4
	s_addc_u32 s7, s7, .str.16@rel32@hi+12
	s_getpc_b64 s[10:11]
	s_add_u32 s10, s10, __PRETTY_FUNCTION__._ZN3sop10minatoIsopEPKjiP7VecsMemIjLi8192EE@rel32@lo+4
	s_addc_u32 s11, s11, __PRETTY_FUNCTION__._ZN3sop10minatoIsopEPKjiP7VecsMemIjLi8192EE@rel32@hi+12
	v_mov_b32_e32 v0, s4
	v_mov_b32_e32 v1, s5
	;; [unrolled: 1-line block ×5, first 2 shown]
	s_waitcnt vmcnt(0)
	v_mov_b32_e32 v6, s11
	s_getpc_b64 s[12:13]
	s_add_u32 s12, s12, __assert_fail@rel32@lo+4
	s_addc_u32 s13, s13, __assert_fail@rel32@hi+12
	s_swappc_b64 s[30:31], s[12:13]
.LBB7_290:
	s_or_b32 exec_lo, exec_lo, s53
	s_mov_b32 s6, exec_lo
	s_xor_b32 s5, exec_lo, -1
.LBB7_291:
	s_or_b32 exec_lo, exec_lo, s52
	s_and_b32 s7, s6, exec_lo
	s_xor_b32 s6, exec_lo, -1
	s_and_b32 s5, s5, exec_lo
.LBB7_292:
	s_or_b32 exec_lo, exec_lo, s51
	s_and_b32 s8, s7, exec_lo
	s_xor_b32 s7, exec_lo, -1
	s_and_b32 s10, s6, exec_lo
	s_and_b32 s5, s5, exec_lo
.LBB7_293:
	s_or_b32 exec_lo, exec_lo, s50
	s_and_b32 s9, s8, exec_lo
	s_xor_b32 s6, exec_lo, -1
	s_and_b32 s8, s7, exec_lo
	s_and_b32 s10, s10, exec_lo
	s_and_b32 s5, s5, exec_lo
.LBB7_294:
	s_or_b32 exec_lo, exec_lo, s49
	s_and_b32 s12, s9, exec_lo
	s_xor_b32 s7, exec_lo, -1
	s_and_b32 s9, s6, exec_lo
	s_and_b32 s8, s8, exec_lo
	s_and_b32 s11, s10, exec_lo
	s_and_b32 s5, s5, exec_lo
.LBB7_295:
	s_or_b32 exec_lo, exec_lo, s48
	s_and_b32 s13, s12, exec_lo
	s_xor_b32 s6, exec_lo, -1
	s_and_b32 s10, s7, exec_lo
	s_and_b32 s9, s9, exec_lo
	;; [unrolled: 1-line block ×5, first 2 shown]
.LBB7_296:
	s_or_b32 exec_lo, exec_lo, s47
	s_and_b32 s13, s13, exec_lo
	s_xor_b32 s7, exec_lo, -1
	s_and_b32 s11, s6, exec_lo
	s_and_b32 s10, s10, exec_lo
	;; [unrolled: 1-line block ×6, first 2 shown]
.LBB7_297:
	s_or_b32 exec_lo, exec_lo, s46
	s_and_b32 s14, s13, exec_lo
	s_xor_b32 s6, exec_lo, -1
	s_and_b32 s13, s7, exec_lo
	s_and_b32 s11, s11, exec_lo
	;; [unrolled: 1-line block ×7, first 2 shown]
.LBB7_298:
	s_or_b32 exec_lo, exec_lo, s45
	s_and_b32 s15, s14, exec_lo
	s_xor_b32 s7, exec_lo, -1
	s_and_b32 s14, s6, exec_lo
	s_and_b32 s13, s13, exec_lo
	;; [unrolled: 1-line block ×8, first 2 shown]
.LBB7_299:
	s_or_b32 exec_lo, exec_lo, s44
	s_and_b32 s16, s15, exec_lo
	s_xor_b32 s6, exec_lo, -1
	s_and_b32 s15, s7, exec_lo
	s_and_b32 s14, s14, exec_lo
	s_and_b32 s13, s13, exec_lo
	s_and_b32 s11, s11, exec_lo
	s_and_b32 s10, s10, exec_lo
	s_and_b32 s9, s9, exec_lo
	s_and_b32 s8, s8, exec_lo
	s_and_b32 s12, s12, exec_lo
	s_and_b32 s5, s5, exec_lo
.LBB7_300:
	s_or_b32 exec_lo, exec_lo, s43
	s_and_b32 s17, s16, exec_lo
	s_xor_b32 s7, exec_lo, -1
	s_and_b32 s16, s6, exec_lo
	s_and_b32 s15, s15, exec_lo
	s_and_b32 s14, s14, exec_lo
	s_and_b32 s13, s13, exec_lo
	s_and_b32 s11, s11, exec_lo
	s_and_b32 s10, s10, exec_lo
	s_and_b32 s9, s9, exec_lo
	s_and_b32 s8, s8, exec_lo
	s_and_b32 s12, s12, exec_lo
	s_and_b32 s5, s5, exec_lo
.LBB7_301:
	s_or_b32 exec_lo, exec_lo, s42
	s_and_b32 s18, s17, exec_lo
	s_xor_b32 s6, exec_lo, -1
	s_and_b32 s17, s7, exec_lo
	s_and_b32 s16, s16, exec_lo
	;; [unrolled: 1-line block ×11, first 2 shown]
.LBB7_302:
	s_or_b32 exec_lo, exec_lo, s41
	s_and_b32 s19, s18, exec_lo
	s_xor_b32 s7, exec_lo, -1
	s_and_b32 s18, s6, exec_lo
	s_and_b32 s17, s17, exec_lo
	;; [unrolled: 1-line block ×12, first 2 shown]
.LBB7_303:
	s_or_b32 exec_lo, exec_lo, s40
	s_and_b32 s20, s19, exec_lo
	s_xor_b32 s6, exec_lo, -1
	s_and_b32 s19, s7, exec_lo
	s_and_b32 s18, s18, exec_lo
	;; [unrolled: 1-line block ×13, first 2 shown]
.LBB7_304:
	s_or_b32 exec_lo, exec_lo, s39
	s_and_b32 s30, s20, exec_lo
	s_xor_b32 s7, exec_lo, -1
	s_and_b32 s20, s6, exec_lo
	s_and_b32 s19, s19, exec_lo
	s_and_b32 s18, s18, exec_lo
	s_and_b32 s17, s17, exec_lo
	s_and_b32 s16, s16, exec_lo
	s_and_b32 s15, s15, exec_lo
	s_and_b32 s14, s14, exec_lo
	s_and_b32 s13, s13, exec_lo
	s_and_b32 s11, s11, exec_lo
	s_and_b32 s10, s10, exec_lo
	s_and_b32 s9, s9, exec_lo
	s_and_b32 s8, s8, exec_lo
	s_and_b32 s12, s12, exec_lo
	s_and_b32 s5, s5, exec_lo
.LBB7_305:
	s_or_b32 exec_lo, exec_lo, s38
	v_readlane_b32 s52, v78, 2
	s_and_b32 s31, s30, exec_lo
	s_xor_b32 s6, exec_lo, -1
	s_and_b32 s30, s7, exec_lo
	s_and_b32 s20, s20, exec_lo
	;; [unrolled: 1-line block ×15, first 2 shown]
.LBB7_306:
	s_or_b32 exec_lo, exec_lo, s37
	s_and_b32 s33, s31, exec_lo
	s_xor_b32 s7, exec_lo, -1
	s_and_b32 s31, s6, exec_lo
	s_and_b32 s30, s30, exec_lo
	;; [unrolled: 1-line block ×16, first 2 shown]
.LBB7_307:
	s_or_b32 exec_lo, exec_lo, s36
	s_and_b32 s36, s33, exec_lo
	s_xor_b32 s6, exec_lo, -1
	s_and_b32 s33, s7, exec_lo
	s_and_b32 s31, s31, exec_lo
	;; [unrolled: 1-line block ×17, first 2 shown]
.LBB7_308:
	s_or_b32 exec_lo, exec_lo, s35
	s_and_b32 s37, s36, exec_lo
	s_xor_b32 s7, exec_lo, -1
	s_and_b32 s36, s6, exec_lo
	s_and_b32 s33, s33, exec_lo
	;; [unrolled: 1-line block ×18, first 2 shown]
.LBB7_309:
	s_or_b32 exec_lo, exec_lo, s34
	s_and_b32 s37, s37, exec_lo
	s_xor_b32 s6, exec_lo, -1
	s_and_b32 s30, s7, exec_lo
	s_and_b32 s34, s36, exec_lo
	;; [unrolled: 1-line block ×19, first 2 shown]
.LBB7_310:
	s_or_b32 exec_lo, exec_lo, s29
	s_and_b32 s37, s37, exec_lo
	s_xor_b32 s7, exec_lo, -1
	s_and_b32 s31, s6, exec_lo
	s_and_b32 s30, s30, exec_lo
	;; [unrolled: 1-line block ×20, first 2 shown]
.LBB7_311:
	s_or_b32 exec_lo, exec_lo, s28
	s_and_b32 s36, s37, exec_lo
	s_xor_b32 s6, exec_lo, -1
	s_and_b32 s37, s7, exec_lo
	s_and_b32 s31, s31, exec_lo
	;; [unrolled: 1-line block ×21, first 2 shown]
.LBB7_312:
	s_or_b32 exec_lo, exec_lo, s27
	s_and_b32 s36, s36, exec_lo
	s_xor_b32 s7, exec_lo, -1
	s_and_b32 s35, s6, exec_lo
	s_and_b32 s37, s37, exec_lo
	;; [unrolled: 1-line block ×22, first 2 shown]
.LBB7_313:
	s_or_b32 exec_lo, exec_lo, s26
	s_and_b32 s38, s36, exec_lo
	s_xor_b32 s6, exec_lo, -1
	s_and_b32 s36, s7, exec_lo
	s_and_b32 s35, s35, exec_lo
	;; [unrolled: 1-line block ×23, first 2 shown]
.LBB7_314:
	s_or_b32 exec_lo, exec_lo, s25
	s_and_b32 s38, s38, exec_lo
	s_xor_b32 s7, exec_lo, -1
	s_and_b32 s34, s6, exec_lo
	s_and_b32 s37, s36, exec_lo
	;; [unrolled: 1-line block ×24, first 2 shown]
.LBB7_315:
	s_or_b32 exec_lo, exec_lo, s24
	s_and_b32 s38, s38, exec_lo
	s_xor_b32 s6, exec_lo, -1
	s_and_b32 s35, s7, exec_lo
	s_and_b32 s34, s34, exec_lo
	;; [unrolled: 1-line block ×25, first 2 shown]
.LBB7_316:
	s_or_b32 exec_lo, exec_lo, s23
	s_and_b32 s38, s38, exec_lo
	s_xor_b32 s7, exec_lo, -1
	s_and_b32 s36, s6, exec_lo
	s_and_b32 s35, s35, exec_lo
	;; [unrolled: 1-line block ×26, first 2 shown]
.LBB7_317:
	s_or_b32 exec_lo, exec_lo, s22
	s_and_b32 s22, s38, exec_lo
	s_xor_b32 s5, exec_lo, -1
	s_and_b32 s40, s7, exec_lo
	s_and_b32 s39, s36, exec_lo
	;; [unrolled: 1-line block ×27, first 2 shown]
.LBB7_318:
	s_or_b32 exec_lo, exec_lo, s21
	s_and_b32 s21, s22, exec_lo
	s_and_b32 s22, s5, exec_lo
	;; [unrolled: 1-line block ×28, first 2 shown]
	s_orn2_b32 s5, s6, exec_lo
.LBB7_319:
	s_or_b32 exec_lo, exec_lo, s52
	s_and_saveexec_b32 s6, s5
	s_or_b32 exec_lo, exec_lo, s6
	s_and_saveexec_b32 s5, s4
	s_xor_b32 s52, exec_lo, s5
	s_cbranch_execnz .LBB7_353
; %bb.320:
	s_or_b32 exec_lo, exec_lo, s52
	s_and_saveexec_b32 s4, s51
	s_xor_b32 s51, exec_lo, s4
	s_cbranch_execnz .LBB7_354
.LBB7_321:
	s_or_b32 exec_lo, exec_lo, s51
	s_and_saveexec_b32 s4, s50
	s_xor_b32 s50, exec_lo, s4
	s_cbranch_execnz .LBB7_355
.LBB7_322:
	s_or_b32 exec_lo, exec_lo, s50
	s_and_saveexec_b32 s4, s49
	s_xor_b32 s49, exec_lo, s4
	s_cbranch_execnz .LBB7_356
.LBB7_323:
	s_or_b32 exec_lo, exec_lo, s49
	s_and_saveexec_b32 s4, s48
	s_xor_b32 s48, exec_lo, s4
	s_cbranch_execnz .LBB7_357
.LBB7_324:
	s_or_b32 exec_lo, exec_lo, s48
	s_and_saveexec_b32 s4, s47
	s_xor_b32 s47, exec_lo, s4
	s_cbranch_execnz .LBB7_358
.LBB7_325:
	s_or_b32 exec_lo, exec_lo, s47
	s_and_saveexec_b32 s4, s46
	s_xor_b32 s46, exec_lo, s4
	s_cbranch_execnz .LBB7_359
.LBB7_326:
	s_or_b32 exec_lo, exec_lo, s46
	s_and_saveexec_b32 s46, s45
	s_cbranch_execnz .LBB7_360
.LBB7_327:
	s_or_b32 exec_lo, exec_lo, s46
	s_and_saveexec_b32 s4, s43
	s_xor_b32 s43, exec_lo, s4
	s_cbranch_execnz .LBB7_361
.LBB7_328:
	s_or_b32 exec_lo, exec_lo, s43
	s_and_saveexec_b32 s43, s44
	s_cbranch_execnz .LBB7_362
.LBB7_329:
	s_or_b32 exec_lo, exec_lo, s43
	s_and_saveexec_b32 s4, s42
	s_xor_b32 s42, exec_lo, s4
	s_cbranch_execnz .LBB7_706
.LBB7_330:
	s_or_b32 exec_lo, exec_lo, s42
	s_and_saveexec_b32 s4, s41
	s_xor_b32 s41, exec_lo, s4
	s_cbranch_execnz .LBB7_707
.LBB7_331:
	s_or_b32 exec_lo, exec_lo, s41
	s_and_saveexec_b32 s4, s40
	s_xor_b32 s40, exec_lo, s4
	s_cbranch_execz .LBB7_333
.LBB7_332:
	s_add_u32 s8, s54, 0x80
	s_addc_u32 s9, s55, 0
	s_getpc_b64 s[4:5]
	s_add_u32 s4, s4, .str.17@rel32@lo+4
	s_addc_u32 s5, s5, .str.17@rel32@hi+12
	s_getpc_b64 s[6:7]
	s_add_u32 s6, s6, .str.16@rel32@lo+4
	s_addc_u32 s7, s7, .str.16@rel32@hi+12
	s_getpc_b64 s[10:11]
	s_add_u32 s10, s10, __PRETTY_FUNCTION__._ZN3sop10minatoIsopEPKjiP7VecsMemIjLi8192EE@rel32@lo+4
	s_addc_u32 s11, s11, __PRETTY_FUNCTION__._ZN3sop10minatoIsopEPKjiP7VecsMemIjLi8192EE@rel32@hi+12
	v_mov_b32_e32 v0, s4
	v_mov_b32_e32 v1, s5
	;; [unrolled: 1-line block ×6, first 2 shown]
	s_waitcnt vmcnt(0)
	v_mov_b32_e32 v6, s11
	s_getpc_b64 s[12:13]
	s_add_u32 s12, s12, __assert_fail@rel32@lo+4
	s_addc_u32 s13, s13, __assert_fail@rel32@hi+12
	s_swappc_b64 s[30:31], s[12:13]
	s_or_b32 s21, s21, exec_lo
.LBB7_333:
	s_or_b32 exec_lo, exec_lo, s40
	s_and_saveexec_b32 s40, s39
	s_cbranch_execnz .LBB7_384
; %bb.334:
	s_or_b32 exec_lo, exec_lo, s40
	s_and_saveexec_b32 s4, s38
	s_xor_b32 s38, exec_lo, s4
	s_cbranch_execnz .LBB7_737
.LBB7_335:
	s_or_b32 exec_lo, exec_lo, s38
	s_and_saveexec_b32 s4, s37
	s_xor_b32 s37, exec_lo, s4
	s_cbranch_execz .LBB7_337
.LBB7_336:
	s_add_u32 s8, s54, 0x80
	s_addc_u32 s9, s55, 0
	s_getpc_b64 s[4:5]
	s_add_u32 s4, s4, .str.2@rel32@lo+4
	s_addc_u32 s5, s5, .str.2@rel32@hi+12
	s_getpc_b64 s[6:7]
	s_add_u32 s6, s6, .str.1@rel32@lo+4
	s_addc_u32 s7, s7, .str.1@rel32@hi+12
	s_getpc_b64 s[10:11]
	s_add_u32 s10, s10, __PRETTY_FUNCTION__._Z12evaluateSubgiPiPKiiiiS1_PKyPKjiPKN8subgUtil4SubgILi256EEE@rel32@lo+4
	s_addc_u32 s11, s11, __PRETTY_FUNCTION__._Z12evaluateSubgiPiPKiiiiS1_PKyPKjiPKN8subgUtil4SubgILi256EEE@rel32@hi+12
	v_mov_b32_e32 v0, s4
	v_mov_b32_e32 v1, s5
	;; [unrolled: 1-line block ×6, first 2 shown]
	s_waitcnt vmcnt(0)
	v_mov_b32_e32 v6, s11
	s_getpc_b64 s[12:13]
	s_add_u32 s12, s12, __assert_fail@rel32@lo+4
	s_addc_u32 s13, s13, __assert_fail@rel32@hi+12
	s_swappc_b64 s[30:31], s[12:13]
	s_or_b32 s21, s21, exec_lo
.LBB7_337:
	s_or_b32 exec_lo, exec_lo, s37
	s_and_saveexec_b32 s4, s36
	s_xor_b32 s36, exec_lo, s4
	s_cbranch_execz .LBB7_339
; %bb.338:
	s_add_u32 s8, s54, 0x80
	s_addc_u32 s9, s55, 0
	s_getpc_b64 s[4:5]
	s_add_u32 s4, s4, .str@rel32@lo+4
	s_addc_u32 s5, s5, .str@rel32@hi+12
	s_getpc_b64 s[6:7]
	s_add_u32 s6, s6, .str.1@rel32@lo+4
	s_addc_u32 s7, s7, .str.1@rel32@hi+12
	s_getpc_b64 s[10:11]
	s_add_u32 s10, s10, __PRETTY_FUNCTION__._Z12evaluateSubgiPiPKiiiiS1_PKyPKjiPKN8subgUtil4SubgILi256EEE@rel32@lo+4
	s_addc_u32 s11, s11, __PRETTY_FUNCTION__._Z12evaluateSubgiPiPKiiiiS1_PKyPKjiPKN8subgUtil4SubgILi256EEE@rel32@hi+12
	v_mov_b32_e32 v0, s4
	v_mov_b32_e32 v1, s5
	;; [unrolled: 1-line block ×6, first 2 shown]
	s_waitcnt vmcnt(0)
	v_mov_b32_e32 v6, s11
	s_getpc_b64 s[12:13]
	s_add_u32 s12, s12, __assert_fail@rel32@lo+4
	s_addc_u32 s13, s13, __assert_fail@rel32@hi+12
	s_swappc_b64 s[30:31], s[12:13]
	s_or_b32 s21, s21, exec_lo
.LBB7_339:
	s_or_b32 exec_lo, exec_lo, s36
	s_and_saveexec_b32 s4, s35
	s_xor_b32 s35, exec_lo, s4
	s_cbranch_execz .LBB7_341
; %bb.340:
	s_add_u32 s8, s54, 0x80
	s_addc_u32 s9, s55, 0
	s_getpc_b64 s[4:5]
	s_add_u32 s4, s4, .str.46@rel32@lo+4
	s_addc_u32 s5, s5, .str.46@rel32@hi+12
	s_getpc_b64 s[6:7]
	s_add_u32 s6, s6, .str.44@rel32@lo+4
	s_addc_u32 s7, s7, .str.44@rel32@hi+12
	s_getpc_b64 s[10:11]
	s_add_u32 s10, s10, __PRETTY_FUNCTION__._ZN8subgUtil18formAndNodeKeyFlagEiii@rel32@lo+4
	s_addc_u32 s11, s11, __PRETTY_FUNCTION__._ZN8subgUtil18formAndNodeKeyFlagEiii@rel32@hi+12
	v_mov_b32_e32 v0, s4
	v_mov_b32_e32 v1, s5
	;; [unrolled: 1-line block ×6, first 2 shown]
	s_waitcnt vmcnt(0)
	v_mov_b32_e32 v6, s11
	s_getpc_b64 s[12:13]
	s_add_u32 s12, s12, __assert_fail@rel32@lo+4
	s_addc_u32 s13, s13, __assert_fail@rel32@hi+12
	s_swappc_b64 s[30:31], s[12:13]
	s_or_b32 s21, s21, exec_lo
.LBB7_341:
	s_or_b32 exec_lo, exec_lo, s35
	s_and_saveexec_b32 s4, s34
	s_xor_b32 s34, exec_lo, s4
	s_cbranch_execz .LBB7_343
; %bb.342:
	s_add_u32 s8, s54, 0x80
	s_addc_u32 s9, s55, 0
	s_getpc_b64 s[4:5]
	s_add_u32 s4, s4, .str.32@rel32@lo+4
	s_addc_u32 s5, s5, .str.32@rel32@hi+12
	s_getpc_b64 s[6:7]
	s_add_u32 s6, s6, .str.31@rel32@lo+4
	s_addc_u32 s7, s7, .str.31@rel32@hi+12
	s_getpc_b64 s[10:11]
	s_add_u32 s10, s10, __PRETTY_FUNCTION__._ZN3sop9sopFactorEPjiiPKiiP7VecsMemIjLi8192EEPN8subgUtil4SubgILi256EEE@rel32@lo+4
	s_addc_u32 s11, s11, __PRETTY_FUNCTION__._ZN3sop9sopFactorEPjiiPKiiP7VecsMemIjLi8192EEPN8subgUtil4SubgILi256EEE@rel32@hi+12
	v_mov_b32_e32 v0, s4
	v_mov_b32_e32 v1, s5
	;; [unrolled: 1-line block ×6, first 2 shown]
	s_waitcnt vmcnt(0)
	v_mov_b32_e32 v6, s11
	s_getpc_b64 s[12:13]
	s_add_u32 s12, s12, __assert_fail@rel32@lo+4
	s_addc_u32 s13, s13, __assert_fail@rel32@hi+12
	s_swappc_b64 s[30:31], s[12:13]
	s_or_b32 s21, s21, exec_lo
.LBB7_343:
	s_or_b32 exec_lo, exec_lo, s34
	s_and_saveexec_b32 s34, s29
	s_cbranch_execnz .LBB7_406
; %bb.344:
	s_or_b32 exec_lo, exec_lo, s34
	s_and_saveexec_b32 s4, s28
	s_xor_b32 s28, exec_lo, s4
	s_cbranch_execnz .LBB7_767
.LBB7_345:
	s_or_b32 exec_lo, exec_lo, s28
	s_and_saveexec_b32 s28, s27
	s_cbranch_execnz .LBB7_768
.LBB7_346:
	s_or_b32 exec_lo, exec_lo, s28
	s_and_saveexec_b32 s4, s26
	s_xor_b32 s26, exec_lo, s4
	s_cbranch_execnz .LBB7_769
.LBB7_347:
	s_or_b32 exec_lo, exec_lo, s26
	s_and_saveexec_b32 s4, s25
	s_xor_b32 s25, exec_lo, s4
	s_cbranch_execnz .LBB7_770
.LBB7_348:
	s_or_b32 exec_lo, exec_lo, s25
	s_and_saveexec_b32 s25, s24
	s_cbranch_execnz .LBB7_771
.LBB7_349:
	s_or_b32 exec_lo, exec_lo, s25
	s_and_saveexec_b32 s4, s23
	s_xor_b32 s23, exec_lo, s4
	s_cbranch_execnz .LBB7_905
.LBB7_350:
	s_or_b32 exec_lo, exec_lo, s23
	s_and_saveexec_b32 s23, s22
	s_cbranch_execnz .LBB7_906
.LBB7_351:
	s_or_b32 exec_lo, exec_lo, s23
	s_and_saveexec_b32 s4, s21
	s_cbranch_execnz .LBB7_907
.LBB7_352:
	s_endpgm
.LBB7_353:
	s_add_u32 s8, s54, 0x80
	s_addc_u32 s9, s55, 0
	s_getpc_b64 s[4:5]
	s_add_u32 s4, s4, .str.11@rel32@lo+4
	s_addc_u32 s5, s5, .str.11@rel32@hi+12
	s_getpc_b64 s[6:7]
	s_add_u32 s6, s6, .str.1@rel32@lo+4
	s_addc_u32 s7, s7, .str.1@rel32@hi+12
	s_getpc_b64 s[10:11]
	s_add_u32 s10, s10, __PRETTY_FUNCTION__._Z8resynCutPKiS0_S0_S0_PKyPKjiS0_PyPiS6_S6_PjS0_S4_ii@rel32@lo+4
	s_addc_u32 s11, s11, __PRETTY_FUNCTION__._Z8resynCutPKiS0_S0_S0_PKyPKjiS0_PyPiS6_S6_PjS0_S4_ii@rel32@hi+12
	v_mov_b32_e32 v0, s4
	v_mov_b32_e32 v1, s5
	;; [unrolled: 1-line block ×6, first 2 shown]
	s_waitcnt vmcnt(0)
	v_mov_b32_e32 v6, s11
	s_getpc_b64 s[12:13]
	s_add_u32 s12, s12, __assert_fail@rel32@lo+4
	s_addc_u32 s13, s13, __assert_fail@rel32@hi+12
	s_swappc_b64 s[30:31], s[12:13]
	s_or_b32 s21, s21, exec_lo
	s_or_b32 exec_lo, exec_lo, s52
	s_and_saveexec_b32 s4, s51
	s_xor_b32 s51, exec_lo, s4
	s_cbranch_execz .LBB7_321
.LBB7_354:
	s_add_u32 s8, s54, 0x80
	s_addc_u32 s9, s55, 0
	s_getpc_b64 s[4:5]
	s_add_u32 s4, s4, .str.10@rel32@lo+4
	s_addc_u32 s5, s5, .str.10@rel32@hi+12
	s_getpc_b64 s[6:7]
	s_add_u32 s6, s6, .str.1@rel32@lo+4
	s_addc_u32 s7, s7, .str.1@rel32@hi+12
	s_getpc_b64 s[10:11]
	s_add_u32 s10, s10, __PRETTY_FUNCTION__._Z8resynCutPKiS0_S0_S0_PKyPKjiS0_PyPiS6_S6_PjS0_S4_ii@rel32@lo+4
	s_addc_u32 s11, s11, __PRETTY_FUNCTION__._Z8resynCutPKiS0_S0_S0_PKyPKjiS0_PyPiS6_S6_PjS0_S4_ii@rel32@hi+12
	v_mov_b32_e32 v0, s4
	v_mov_b32_e32 v1, s5
	;; [unrolled: 1-line block ×6, first 2 shown]
	s_waitcnt vmcnt(0)
	v_mov_b32_e32 v6, s11
	s_getpc_b64 s[12:13]
	s_add_u32 s12, s12, __assert_fail@rel32@lo+4
	s_addc_u32 s13, s13, __assert_fail@rel32@hi+12
	s_swappc_b64 s[30:31], s[12:13]
	s_or_b32 s21, s21, exec_lo
	s_or_b32 exec_lo, exec_lo, s51
	s_and_saveexec_b32 s4, s50
	s_xor_b32 s50, exec_lo, s4
	s_cbranch_execz .LBB7_322
.LBB7_355:
	s_add_u32 s8, s54, 0x80
	s_addc_u32 s9, s55, 0
	s_getpc_b64 s[4:5]
	s_add_u32 s4, s4, .str.9@rel32@lo+4
	s_addc_u32 s5, s5, .str.9@rel32@hi+12
	s_getpc_b64 s[6:7]
	s_add_u32 s6, s6, .str.1@rel32@lo+4
	s_addc_u32 s7, s7, .str.1@rel32@hi+12
	s_getpc_b64 s[10:11]
	s_add_u32 s10, s10, __PRETTY_FUNCTION__._Z8resynCutPKiS0_S0_S0_PKyPKjiS0_PyPiS6_S6_PjS0_S4_ii@rel32@lo+4
	s_addc_u32 s11, s11, __PRETTY_FUNCTION__._Z8resynCutPKiS0_S0_S0_PKyPKjiS0_PyPiS6_S6_PjS0_S4_ii@rel32@hi+12
	v_mov_b32_e32 v0, s4
	v_mov_b32_e32 v1, s5
	;; [unrolled: 1-line block ×6, first 2 shown]
	s_waitcnt vmcnt(0)
	v_mov_b32_e32 v6, s11
	s_getpc_b64 s[12:13]
	s_add_u32 s12, s12, __assert_fail@rel32@lo+4
	s_addc_u32 s13, s13, __assert_fail@rel32@hi+12
	s_swappc_b64 s[30:31], s[12:13]
	s_or_b32 s21, s21, exec_lo
	s_or_b32 exec_lo, exec_lo, s50
	s_and_saveexec_b32 s4, s49
	s_xor_b32 s49, exec_lo, s4
	s_cbranch_execz .LBB7_323
.LBB7_356:
	s_add_u32 s8, s54, 0x80
	s_addc_u32 s9, s55, 0
	s_getpc_b64 s[4:5]
	s_add_u32 s4, s4, .str.8@rel32@lo+4
	s_addc_u32 s5, s5, .str.8@rel32@hi+12
	s_getpc_b64 s[6:7]
	s_add_u32 s6, s6, .str.1@rel32@lo+4
	s_addc_u32 s7, s7, .str.1@rel32@hi+12
	s_getpc_b64 s[10:11]
	s_add_u32 s10, s10, __PRETTY_FUNCTION__._Z8resynCutPKiS0_S0_S0_PKyPKjiS0_PyPiS6_S6_PjS0_S4_ii@rel32@lo+4
	s_addc_u32 s11, s11, __PRETTY_FUNCTION__._Z8resynCutPKiS0_S0_S0_PKyPKjiS0_PyPiS6_S6_PjS0_S4_ii@rel32@hi+12
	v_mov_b32_e32 v0, s4
	v_mov_b32_e32 v1, s5
	;; [unrolled: 1-line block ×6, first 2 shown]
	s_waitcnt vmcnt(0)
	v_mov_b32_e32 v6, s11
	s_getpc_b64 s[12:13]
	s_add_u32 s12, s12, __assert_fail@rel32@lo+4
	s_addc_u32 s13, s13, __assert_fail@rel32@hi+12
	s_swappc_b64 s[30:31], s[12:13]
	s_or_b32 s21, s21, exec_lo
	s_or_b32 exec_lo, exec_lo, s49
	s_and_saveexec_b32 s4, s48
	s_xor_b32 s48, exec_lo, s4
	s_cbranch_execz .LBB7_324
.LBB7_357:
	s_add_u32 s8, s54, 0x80
	s_addc_u32 s9, s55, 0
	s_getpc_b64 s[4:5]
	s_add_u32 s4, s4, .str.2@rel32@lo+4
	s_addc_u32 s5, s5, .str.2@rel32@hi+12
	s_getpc_b64 s[6:7]
	s_add_u32 s6, s6, .str.1@rel32@lo+4
	s_addc_u32 s7, s7, .str.1@rel32@hi+12
	s_getpc_b64 s[10:11]
	s_add_u32 s10, s10, __PRETTY_FUNCTION__._Z12evaluateSubgiPiPKiiiiS1_PKyPKjiPKN8subgUtil4SubgILi256EEE@rel32@lo+4
	s_addc_u32 s11, s11, __PRETTY_FUNCTION__._Z12evaluateSubgiPiPKiiiiS1_PKyPKjiPKN8subgUtil4SubgILi256EEE@rel32@hi+12
	v_mov_b32_e32 v0, s4
	v_mov_b32_e32 v1, s5
	;; [unrolled: 1-line block ×6, first 2 shown]
	s_waitcnt vmcnt(0)
	v_mov_b32_e32 v6, s11
	s_getpc_b64 s[12:13]
	s_add_u32 s12, s12, __assert_fail@rel32@lo+4
	s_addc_u32 s13, s13, __assert_fail@rel32@hi+12
	s_swappc_b64 s[30:31], s[12:13]
	s_or_b32 s21, s21, exec_lo
	s_or_b32 exec_lo, exec_lo, s48
	s_and_saveexec_b32 s4, s47
	s_xor_b32 s47, exec_lo, s4
	s_cbranch_execz .LBB7_325
.LBB7_358:
	s_add_u32 s8, s54, 0x80
	s_addc_u32 s9, s55, 0
	s_getpc_b64 s[4:5]
	s_add_u32 s4, s4, .str@rel32@lo+4
	s_addc_u32 s5, s5, .str@rel32@hi+12
	s_getpc_b64 s[6:7]
	s_add_u32 s6, s6, .str.1@rel32@lo+4
	s_addc_u32 s7, s7, .str.1@rel32@hi+12
	s_getpc_b64 s[10:11]
	s_add_u32 s10, s10, __PRETTY_FUNCTION__._Z12evaluateSubgiPiPKiiiiS1_PKyPKjiPKN8subgUtil4SubgILi256EEE@rel32@lo+4
	s_addc_u32 s11, s11, __PRETTY_FUNCTION__._Z12evaluateSubgiPiPKiiiiS1_PKyPKjiPKN8subgUtil4SubgILi256EEE@rel32@hi+12
	v_mov_b32_e32 v0, s4
	v_mov_b32_e32 v1, s5
	;; [unrolled: 1-line block ×6, first 2 shown]
	s_waitcnt vmcnt(0)
	v_mov_b32_e32 v6, s11
	s_getpc_b64 s[12:13]
	s_add_u32 s12, s12, __assert_fail@rel32@lo+4
	s_addc_u32 s13, s13, __assert_fail@rel32@hi+12
	s_swappc_b64 s[30:31], s[12:13]
	s_or_b32 s21, s21, exec_lo
	s_or_b32 exec_lo, exec_lo, s47
	s_and_saveexec_b32 s4, s46
	s_xor_b32 s46, exec_lo, s4
	s_cbranch_execz .LBB7_326
.LBB7_359:
	s_add_u32 s8, s54, 0x80
	s_addc_u32 s9, s55, 0
	s_getpc_b64 s[4:5]
	s_add_u32 s4, s4, .str.46@rel32@lo+4
	s_addc_u32 s5, s5, .str.46@rel32@hi+12
	s_getpc_b64 s[6:7]
	s_add_u32 s6, s6, .str.44@rel32@lo+4
	s_addc_u32 s7, s7, .str.44@rel32@hi+12
	s_getpc_b64 s[10:11]
	s_add_u32 s10, s10, __PRETTY_FUNCTION__._ZN8subgUtil18formAndNodeKeyFlagEiii@rel32@lo+4
	s_addc_u32 s11, s11, __PRETTY_FUNCTION__._ZN8subgUtil18formAndNodeKeyFlagEiii@rel32@hi+12
	v_mov_b32_e32 v0, s4
	v_mov_b32_e32 v1, s5
	;; [unrolled: 1-line block ×6, first 2 shown]
	s_waitcnt vmcnt(0)
	v_mov_b32_e32 v6, s11
	s_getpc_b64 s[12:13]
	s_add_u32 s12, s12, __assert_fail@rel32@lo+4
	s_addc_u32 s13, s13, __assert_fail@rel32@hi+12
	s_swappc_b64 s[30:31], s[12:13]
	s_or_b32 s21, s21, exec_lo
	s_or_b32 exec_lo, exec_lo, s46
	s_and_saveexec_b32 s46, s45
	s_cbranch_execz .LBB7_327
.LBB7_360:
	s_add_u32 s8, s54, 0x80
	s_addc_u32 s9, s55, 0
	s_getpc_b64 s[4:5]
	s_add_u32 s4, s4, .str.32@rel32@lo+4
	s_addc_u32 s5, s5, .str.32@rel32@hi+12
	s_getpc_b64 s[6:7]
	s_add_u32 s6, s6, .str.31@rel32@lo+4
	s_addc_u32 s7, s7, .str.31@rel32@hi+12
	s_getpc_b64 s[10:11]
	s_add_u32 s10, s10, __PRETTY_FUNCTION__._ZN3sop9sopFactorEPjiiPKiiP7VecsMemIjLi8192EEPN8subgUtil4SubgILi256EEE@rel32@lo+4
	s_addc_u32 s11, s11, __PRETTY_FUNCTION__._ZN3sop9sopFactorEPjiiPKiiP7VecsMemIjLi8192EEPN8subgUtil4SubgILi256EEE@rel32@hi+12
	v_mov_b32_e32 v0, s4
	v_mov_b32_e32 v1, s5
	;; [unrolled: 1-line block ×6, first 2 shown]
	s_waitcnt vmcnt(0)
	v_mov_b32_e32 v6, s11
	s_getpc_b64 s[12:13]
	s_add_u32 s12, s12, __assert_fail@rel32@lo+4
	s_addc_u32 s13, s13, __assert_fail@rel32@hi+12
	s_swappc_b64 s[30:31], s[12:13]
	s_or_b32 s21, s21, exec_lo
	s_or_b32 exec_lo, exec_lo, s46
	s_and_saveexec_b32 s4, s43
	s_xor_b32 s43, exec_lo, s4
	s_cbranch_execz .LBB7_328
.LBB7_361:
	s_add_u32 s8, s54, 0x80
	s_addc_u32 s9, s55, 0
	s_getpc_b64 s[4:5]
	s_add_u32 s4, s4, .str.46@rel32@lo+4
	s_addc_u32 s5, s5, .str.46@rel32@hi+12
	s_getpc_b64 s[6:7]
	s_add_u32 s6, s6, .str.44@rel32@lo+4
	s_addc_u32 s7, s7, .str.44@rel32@hi+12
	s_getpc_b64 s[10:11]
	s_add_u32 s10, s10, __PRETTY_FUNCTION__._ZN8subgUtil18formAndNodeKeyFlagEiii@rel32@lo+4
	s_addc_u32 s11, s11, __PRETTY_FUNCTION__._ZN8subgUtil18formAndNodeKeyFlagEiii@rel32@hi+12
	v_mov_b32_e32 v0, s4
	v_mov_b32_e32 v1, s5
	;; [unrolled: 1-line block ×6, first 2 shown]
	s_waitcnt vmcnt(0)
	v_mov_b32_e32 v6, s11
	s_getpc_b64 s[12:13]
	s_add_u32 s12, s12, __assert_fail@rel32@lo+4
	s_addc_u32 s13, s13, __assert_fail@rel32@hi+12
	s_swappc_b64 s[30:31], s[12:13]
	s_or_b32 s21, s21, exec_lo
	s_or_b32 exec_lo, exec_lo, s43
	s_and_saveexec_b32 s43, s44
	s_cbranch_execz .LBB7_329
.LBB7_362:
	v_readlane_b32 s4, v78, 0
	v_readlane_b32 s5, v78, 1
	v_mbcnt_lo_u32_b32 v29, -1, 0
	s_waitcnt vmcnt(0)
	v_mov_b32_e32 v6, 0
	v_mov_b32_e32 v7, 0
	s_load_dwordx2 s[6:7], s[4:5], 0x50
	v_readfirstlane_b32 s4, v29
	v_cmp_eq_u32_e64 s4, s4, v29
	s_and_saveexec_b32 s5, s4
	s_cbranch_execz .LBB7_368
; %bb.363:
	v_mov_b32_e32 v0, 0
	s_mov_b32 s8, exec_lo
	s_waitcnt lgkmcnt(0)
	global_load_dwordx2 v[3:4], v0, s[6:7] offset:24 glc dlc
	s_waitcnt vmcnt(0)
	buffer_gl1_inv
	buffer_gl0_inv
	s_clause 0x1
	global_load_dwordx2 v[1:2], v0, s[6:7] offset:40
	global_load_dwordx2 v[5:6], v0, s[6:7]
	s_waitcnt vmcnt(1)
	v_and_b32_e32 v2, v2, v4
	v_and_b32_e32 v1, v1, v3
	v_mul_lo_u32 v2, v2, 24
	v_mul_hi_u32 v7, v1, 24
	v_mul_lo_u32 v1, v1, 24
	v_add_nc_u32_e32 v2, v7, v2
	s_waitcnt vmcnt(0)
	v_add_co_u32 v1, vcc_lo, v5, v1
	v_add_co_ci_u32_e64 v2, null, v6, v2, vcc_lo
	global_load_dwordx2 v[1:2], v[1:2], off glc dlc
	s_waitcnt vmcnt(0)
	global_atomic_cmpswap_x2 v[6:7], v0, v[1:4], s[6:7] offset:24 glc
	s_waitcnt vmcnt(0)
	buffer_gl1_inv
	buffer_gl0_inv
	v_cmpx_ne_u64_e64 v[6:7], v[3:4]
	s_cbranch_execz .LBB7_367
; %bb.364:
	s_mov_b32 s9, 0
	.p2align	6
.LBB7_365:                              ; =>This Inner Loop Header: Depth=1
	s_sleep 1
	s_clause 0x1
	global_load_dwordx2 v[1:2], v0, s[6:7] offset:40
	global_load_dwordx2 v[8:9], v0, s[6:7]
	v_mov_b32_e32 v3, v6
	v_mov_b32_e32 v4, v7
	s_waitcnt vmcnt(1)
	v_and_b32_e32 v1, v1, v3
	v_and_b32_e32 v2, v2, v4
	s_waitcnt vmcnt(0)
	v_mad_u64_u32 v[5:6], null, v1, 24, v[8:9]
	v_mov_b32_e32 v1, v6
	v_mad_u64_u32 v[1:2], null, v2, 24, v[1:2]
	v_mov_b32_e32 v6, v1
	global_load_dwordx2 v[1:2], v[5:6], off glc dlc
	s_waitcnt vmcnt(0)
	global_atomic_cmpswap_x2 v[6:7], v0, v[1:4], s[6:7] offset:24 glc
	s_waitcnt vmcnt(0)
	buffer_gl1_inv
	buffer_gl0_inv
	v_cmp_eq_u64_e32 vcc_lo, v[6:7], v[3:4]
	s_or_b32 s9, vcc_lo, s9
	s_andn2_b32 exec_lo, exec_lo, s9
	s_cbranch_execnz .LBB7_365
; %bb.366:
	s_or_b32 exec_lo, exec_lo, s9
.LBB7_367:
	s_or_b32 exec_lo, exec_lo, s8
.LBB7_368:
	s_or_b32 exec_lo, exec_lo, s5
	v_mov_b32_e32 v5, 0
	v_readfirstlane_b32 s9, v7
	v_readfirstlane_b32 s8, v6
	s_mov_b32 s5, exec_lo
	s_waitcnt lgkmcnt(0)
	s_clause 0x1
	global_load_dwordx2 v[8:9], v5, s[6:7] offset:40
	global_load_dwordx4 v[0:3], v5, s[6:7]
	s_waitcnt vmcnt(1)
	v_readfirstlane_b32 s10, v8
	v_readfirstlane_b32 s11, v9
	s_and_b64 s[10:11], s[10:11], s[8:9]
	s_mul_i32 s12, s11, 24
	s_mul_hi_u32 s13, s10, 24
	s_mul_i32 s14, s10, 24
	s_add_i32 s13, s13, s12
	s_waitcnt vmcnt(0)
	v_add_co_u32 v8, vcc_lo, v0, s14
	v_add_co_ci_u32_e64 v9, null, s13, v1, vcc_lo
	s_and_saveexec_b32 s12, s4
	s_cbranch_execz .LBB7_370
; %bb.369:
	v_mov_b32_e32 v4, s5
	v_mov_b32_e32 v6, 2
	;; [unrolled: 1-line block ×3, first 2 shown]
	global_store_dwordx4 v[8:9], v[4:7], off offset:8
.LBB7_370:
	s_or_b32 exec_lo, exec_lo, s12
	s_lshl_b64 s[10:11], s[10:11], 12
	v_lshlrev_b32_e32 v28, 6, v29
	v_add_co_u32 v2, vcc_lo, v2, s10
	v_add_co_ci_u32_e64 v3, null, s11, v3, vcc_lo
	s_mov_b32 s12, 0
	v_add_co_u32 v10, vcc_lo, v2, v28
	s_mov_b32 s13, s12
	s_mov_b32 s14, s12
	;; [unrolled: 1-line block ×3, first 2 shown]
	v_mov_b32_e32 v4, 33
	v_mov_b32_e32 v6, v5
	;; [unrolled: 1-line block ×3, first 2 shown]
	v_readfirstlane_b32 s10, v2
	v_readfirstlane_b32 s11, v3
	v_mov_b32_e32 v12, s12
	v_add_co_ci_u32_e64 v11, null, 0, v3, vcc_lo
	v_mov_b32_e32 v13, s13
	v_mov_b32_e32 v14, s14
	;; [unrolled: 1-line block ×3, first 2 shown]
	global_store_dwordx4 v28, v[4:7], s[10:11]
	global_store_dwordx4 v28, v[12:15], s[10:11] offset:16
	global_store_dwordx4 v28, v[12:15], s[10:11] offset:32
	;; [unrolled: 1-line block ×3, first 2 shown]
	s_and_saveexec_b32 s5, s4
	s_cbranch_execz .LBB7_378
; %bb.371:
	v_mov_b32_e32 v6, 0
	v_mov_b32_e32 v12, s8
	;; [unrolled: 1-line block ×3, first 2 shown]
	s_mov_b32 s10, exec_lo
	s_clause 0x1
	global_load_dwordx2 v[14:15], v6, s[6:7] offset:32 glc dlc
	global_load_dwordx2 v[2:3], v6, s[6:7] offset:40
	s_waitcnt vmcnt(0)
	v_and_b32_e32 v3, s9, v3
	v_and_b32_e32 v2, s8, v2
	v_mul_lo_u32 v3, v3, 24
	v_mul_hi_u32 v4, v2, 24
	v_mul_lo_u32 v2, v2, 24
	v_add_nc_u32_e32 v3, v4, v3
	v_add_co_u32 v4, vcc_lo, v0, v2
	v_add_co_ci_u32_e64 v5, null, v1, v3, vcc_lo
	global_store_dwordx2 v[4:5], v[14:15], off
	s_waitcnt_vscnt null, 0x0
	global_atomic_cmpswap_x2 v[2:3], v6, v[12:15], s[6:7] offset:32 glc
	s_waitcnt vmcnt(0)
	v_cmpx_ne_u64_e64 v[2:3], v[14:15]
	s_cbranch_execz .LBB7_374
; %bb.372:
	s_mov_b32 s11, 0
.LBB7_373:                              ; =>This Inner Loop Header: Depth=1
	v_mov_b32_e32 v0, s8
	v_mov_b32_e32 v1, s9
	s_sleep 1
	global_store_dwordx2 v[4:5], v[2:3], off
	s_waitcnt_vscnt null, 0x0
	global_atomic_cmpswap_x2 v[0:1], v6, v[0:3], s[6:7] offset:32 glc
	s_waitcnt vmcnt(0)
	v_cmp_eq_u64_e32 vcc_lo, v[0:1], v[2:3]
	v_mov_b32_e32 v3, v1
	v_mov_b32_e32 v2, v0
	s_or_b32 s11, vcc_lo, s11
	s_andn2_b32 exec_lo, exec_lo, s11
	s_cbranch_execnz .LBB7_373
.LBB7_374:
	s_or_b32 exec_lo, exec_lo, s10
	v_mov_b32_e32 v3, 0
	s_mov_b32 s11, exec_lo
	s_mov_b32 s10, exec_lo
	v_mbcnt_lo_u32_b32 v2, s11, 0
	global_load_dwordx2 v[0:1], v3, s[6:7] offset:16
	v_cmpx_eq_u32_e32 0, v2
	s_cbranch_execz .LBB7_376
; %bb.375:
	s_bcnt1_i32_b32 s11, s11
	v_mov_b32_e32 v2, s11
	s_waitcnt vmcnt(0)
	global_atomic_add_x2 v[0:1], v[2:3], off offset:8
.LBB7_376:
	s_or_b32 exec_lo, exec_lo, s10
	s_waitcnt vmcnt(0)
	global_load_dwordx2 v[2:3], v[0:1], off offset:16
	s_waitcnt vmcnt(0)
	v_cmp_eq_u64_e32 vcc_lo, 0, v[2:3]
	s_cbranch_vccnz .LBB7_378
; %bb.377:
	global_load_dword v0, v[0:1], off offset:24
	v_mov_b32_e32 v1, 0
	s_waitcnt vmcnt(0)
	v_readfirstlane_b32 s10, v0
	s_waitcnt_vscnt null, 0x0
	global_store_dwordx2 v[2:3], v[0:1], off
	s_and_b32 m0, s10, 0x7fffff
	s_sendmsg sendmsg(MSG_INTERRUPT)
.LBB7_378:
	s_or_b32 exec_lo, exec_lo, s5
	s_branch .LBB7_382
	.p2align	6
.LBB7_379:                              ;   in Loop: Header=BB7_382 Depth=1
	s_or_b32 exec_lo, exec_lo, s5
	v_readfirstlane_b32 s5, v0
	s_cmp_eq_u32 s5, 0
	s_cbranch_scc1 .LBB7_381
; %bb.380:                              ;   in Loop: Header=BB7_382 Depth=1
	s_sleep 1
	s_cbranch_execnz .LBB7_382
	s_branch .LBB7_428
	.p2align	6
.LBB7_381:
	s_branch .LBB7_428
.LBB7_382:                              ; =>This Inner Loop Header: Depth=1
	v_mov_b32_e32 v0, 1
	s_and_saveexec_b32 s5, s4
	s_cbranch_execz .LBB7_379
; %bb.383:                              ;   in Loop: Header=BB7_382 Depth=1
	global_load_dword v0, v[8:9], off offset:20 glc dlc
	s_waitcnt vmcnt(0)
	buffer_gl1_inv
	buffer_gl0_inv
	v_and_b32_e32 v0, 1, v0
	s_branch .LBB7_379
.LBB7_384:
	v_readlane_b32 s4, v78, 0
	v_readlane_b32 s5, v78, 1
	v_mbcnt_lo_u32_b32 v29, -1, 0
	s_waitcnt vmcnt(0)
	v_mov_b32_e32 v6, 0
	v_mov_b32_e32 v7, 0
	s_load_dwordx2 s[6:7], s[4:5], 0x50
	v_readfirstlane_b32 s4, v29
	v_cmp_eq_u32_e64 s4, s4, v29
	s_and_saveexec_b32 s5, s4
	s_cbranch_execz .LBB7_390
; %bb.385:
	v_mov_b32_e32 v0, 0
	s_mov_b32 s8, exec_lo
	s_waitcnt lgkmcnt(0)
	global_load_dwordx2 v[3:4], v0, s[6:7] offset:24 glc dlc
	s_waitcnt vmcnt(0)
	buffer_gl1_inv
	buffer_gl0_inv
	s_clause 0x1
	global_load_dwordx2 v[1:2], v0, s[6:7] offset:40
	global_load_dwordx2 v[5:6], v0, s[6:7]
	s_waitcnt vmcnt(1)
	v_and_b32_e32 v2, v2, v4
	v_and_b32_e32 v1, v1, v3
	v_mul_lo_u32 v2, v2, 24
	v_mul_hi_u32 v7, v1, 24
	v_mul_lo_u32 v1, v1, 24
	v_add_nc_u32_e32 v2, v7, v2
	s_waitcnt vmcnt(0)
	v_add_co_u32 v1, vcc_lo, v5, v1
	v_add_co_ci_u32_e64 v2, null, v6, v2, vcc_lo
	global_load_dwordx2 v[1:2], v[1:2], off glc dlc
	s_waitcnt vmcnt(0)
	global_atomic_cmpswap_x2 v[6:7], v0, v[1:4], s[6:7] offset:24 glc
	s_waitcnt vmcnt(0)
	buffer_gl1_inv
	buffer_gl0_inv
	v_cmpx_ne_u64_e64 v[6:7], v[3:4]
	s_cbranch_execz .LBB7_389
; %bb.386:
	s_mov_b32 s9, 0
	.p2align	6
.LBB7_387:                              ; =>This Inner Loop Header: Depth=1
	s_sleep 1
	s_clause 0x1
	global_load_dwordx2 v[1:2], v0, s[6:7] offset:40
	global_load_dwordx2 v[8:9], v0, s[6:7]
	v_mov_b32_e32 v3, v6
	v_mov_b32_e32 v4, v7
	s_waitcnt vmcnt(1)
	v_and_b32_e32 v1, v1, v3
	v_and_b32_e32 v2, v2, v4
	s_waitcnt vmcnt(0)
	v_mad_u64_u32 v[5:6], null, v1, 24, v[8:9]
	v_mov_b32_e32 v1, v6
	v_mad_u64_u32 v[1:2], null, v2, 24, v[1:2]
	v_mov_b32_e32 v6, v1
	global_load_dwordx2 v[1:2], v[5:6], off glc dlc
	s_waitcnt vmcnt(0)
	global_atomic_cmpswap_x2 v[6:7], v0, v[1:4], s[6:7] offset:24 glc
	s_waitcnt vmcnt(0)
	buffer_gl1_inv
	buffer_gl0_inv
	v_cmp_eq_u64_e32 vcc_lo, v[6:7], v[3:4]
	s_or_b32 s9, vcc_lo, s9
	s_andn2_b32 exec_lo, exec_lo, s9
	s_cbranch_execnz .LBB7_387
; %bb.388:
	s_or_b32 exec_lo, exec_lo, s9
.LBB7_389:
	s_or_b32 exec_lo, exec_lo, s8
.LBB7_390:
	s_or_b32 exec_lo, exec_lo, s5
	v_mov_b32_e32 v5, 0
	v_readfirstlane_b32 s9, v7
	v_readfirstlane_b32 s8, v6
	s_mov_b32 s5, exec_lo
	s_waitcnt lgkmcnt(0)
	s_clause 0x1
	global_load_dwordx2 v[8:9], v5, s[6:7] offset:40
	global_load_dwordx4 v[0:3], v5, s[6:7]
	s_waitcnt vmcnt(1)
	v_readfirstlane_b32 s10, v8
	v_readfirstlane_b32 s11, v9
	s_and_b64 s[10:11], s[10:11], s[8:9]
	s_mul_i32 s12, s11, 24
	s_mul_hi_u32 s13, s10, 24
	s_mul_i32 s14, s10, 24
	s_add_i32 s13, s13, s12
	s_waitcnt vmcnt(0)
	v_add_co_u32 v8, vcc_lo, v0, s14
	v_add_co_ci_u32_e64 v9, null, s13, v1, vcc_lo
	s_and_saveexec_b32 s12, s4
	s_cbranch_execz .LBB7_392
; %bb.391:
	v_mov_b32_e32 v4, s5
	v_mov_b32_e32 v6, 2
	;; [unrolled: 1-line block ×3, first 2 shown]
	global_store_dwordx4 v[8:9], v[4:7], off offset:8
.LBB7_392:
	s_or_b32 exec_lo, exec_lo, s12
	s_lshl_b64 s[10:11], s[10:11], 12
	v_lshlrev_b32_e32 v28, 6, v29
	v_add_co_u32 v2, vcc_lo, v2, s10
	v_add_co_ci_u32_e64 v3, null, s11, v3, vcc_lo
	s_mov_b32 s12, 0
	v_add_co_u32 v10, vcc_lo, v2, v28
	s_mov_b32 s13, s12
	s_mov_b32 s14, s12
	;; [unrolled: 1-line block ×3, first 2 shown]
	v_mov_b32_e32 v4, 33
	v_mov_b32_e32 v6, v5
	;; [unrolled: 1-line block ×3, first 2 shown]
	v_readfirstlane_b32 s10, v2
	v_readfirstlane_b32 s11, v3
	v_mov_b32_e32 v12, s12
	v_add_co_ci_u32_e64 v11, null, 0, v3, vcc_lo
	v_mov_b32_e32 v13, s13
	v_mov_b32_e32 v14, s14
	;; [unrolled: 1-line block ×3, first 2 shown]
	global_store_dwordx4 v28, v[4:7], s[10:11]
	global_store_dwordx4 v28, v[12:15], s[10:11] offset:16
	global_store_dwordx4 v28, v[12:15], s[10:11] offset:32
	;; [unrolled: 1-line block ×3, first 2 shown]
	s_and_saveexec_b32 s5, s4
	s_cbranch_execz .LBB7_400
; %bb.393:
	v_mov_b32_e32 v6, 0
	v_mov_b32_e32 v12, s8
	;; [unrolled: 1-line block ×3, first 2 shown]
	s_mov_b32 s10, exec_lo
	s_clause 0x1
	global_load_dwordx2 v[14:15], v6, s[6:7] offset:32 glc dlc
	global_load_dwordx2 v[2:3], v6, s[6:7] offset:40
	s_waitcnt vmcnt(0)
	v_and_b32_e32 v3, s9, v3
	v_and_b32_e32 v2, s8, v2
	v_mul_lo_u32 v3, v3, 24
	v_mul_hi_u32 v4, v2, 24
	v_mul_lo_u32 v2, v2, 24
	v_add_nc_u32_e32 v3, v4, v3
	v_add_co_u32 v4, vcc_lo, v0, v2
	v_add_co_ci_u32_e64 v5, null, v1, v3, vcc_lo
	global_store_dwordx2 v[4:5], v[14:15], off
	s_waitcnt_vscnt null, 0x0
	global_atomic_cmpswap_x2 v[2:3], v6, v[12:15], s[6:7] offset:32 glc
	s_waitcnt vmcnt(0)
	v_cmpx_ne_u64_e64 v[2:3], v[14:15]
	s_cbranch_execz .LBB7_396
; %bb.394:
	s_mov_b32 s11, 0
.LBB7_395:                              ; =>This Inner Loop Header: Depth=1
	v_mov_b32_e32 v0, s8
	v_mov_b32_e32 v1, s9
	s_sleep 1
	global_store_dwordx2 v[4:5], v[2:3], off
	s_waitcnt_vscnt null, 0x0
	global_atomic_cmpswap_x2 v[0:1], v6, v[0:3], s[6:7] offset:32 glc
	s_waitcnt vmcnt(0)
	v_cmp_eq_u64_e32 vcc_lo, v[0:1], v[2:3]
	v_mov_b32_e32 v3, v1
	v_mov_b32_e32 v2, v0
	s_or_b32 s11, vcc_lo, s11
	s_andn2_b32 exec_lo, exec_lo, s11
	s_cbranch_execnz .LBB7_395
.LBB7_396:
	s_or_b32 exec_lo, exec_lo, s10
	v_mov_b32_e32 v3, 0
	s_mov_b32 s11, exec_lo
	s_mov_b32 s10, exec_lo
	v_mbcnt_lo_u32_b32 v2, s11, 0
	global_load_dwordx2 v[0:1], v3, s[6:7] offset:16
	v_cmpx_eq_u32_e32 0, v2
	s_cbranch_execz .LBB7_398
; %bb.397:
	s_bcnt1_i32_b32 s11, s11
	v_mov_b32_e32 v2, s11
	s_waitcnt vmcnt(0)
	global_atomic_add_x2 v[0:1], v[2:3], off offset:8
.LBB7_398:
	s_or_b32 exec_lo, exec_lo, s10
	s_waitcnt vmcnt(0)
	global_load_dwordx2 v[2:3], v[0:1], off offset:16
	s_waitcnt vmcnt(0)
	v_cmp_eq_u64_e32 vcc_lo, 0, v[2:3]
	s_cbranch_vccnz .LBB7_400
; %bb.399:
	global_load_dword v0, v[0:1], off offset:24
	v_mov_b32_e32 v1, 0
	s_waitcnt vmcnt(0)
	v_readfirstlane_b32 s10, v0
	s_waitcnt_vscnt null, 0x0
	global_store_dwordx2 v[2:3], v[0:1], off
	s_and_b32 m0, s10, 0x7fffff
	s_sendmsg sendmsg(MSG_INTERRUPT)
.LBB7_400:
	s_or_b32 exec_lo, exec_lo, s5
	s_branch .LBB7_404
	.p2align	6
.LBB7_401:                              ;   in Loop: Header=BB7_404 Depth=1
	s_or_b32 exec_lo, exec_lo, s5
	v_readfirstlane_b32 s5, v0
	s_cmp_eq_u32 s5, 0
	s_cbranch_scc1 .LBB7_403
; %bb.402:                              ;   in Loop: Header=BB7_404 Depth=1
	s_sleep 1
	s_cbranch_execnz .LBB7_404
	s_branch .LBB7_510
	.p2align	6
.LBB7_403:
	s_branch .LBB7_510
.LBB7_404:                              ; =>This Inner Loop Header: Depth=1
	v_mov_b32_e32 v0, 1
	s_and_saveexec_b32 s5, s4
	s_cbranch_execz .LBB7_401
; %bb.405:                              ;   in Loop: Header=BB7_404 Depth=1
	global_load_dword v0, v[8:9], off offset:20 glc dlc
	s_waitcnt vmcnt(0)
	buffer_gl1_inv
	buffer_gl0_inv
	v_and_b32_e32 v0, 1, v0
	s_branch .LBB7_401
.LBB7_406:
	v_readlane_b32 s4, v78, 0
	v_readlane_b32 s5, v78, 1
	v_mbcnt_lo_u32_b32 v29, -1, 0
	s_waitcnt vmcnt(0)
	v_mov_b32_e32 v6, 0
	v_mov_b32_e32 v7, 0
	s_load_dwordx2 s[6:7], s[4:5], 0x50
	v_readfirstlane_b32 s4, v29
	v_cmp_eq_u32_e64 s4, s4, v29
	s_and_saveexec_b32 s5, s4
	s_cbranch_execz .LBB7_412
; %bb.407:
	v_mov_b32_e32 v0, 0
	s_mov_b32 s8, exec_lo
	s_waitcnt lgkmcnt(0)
	global_load_dwordx2 v[3:4], v0, s[6:7] offset:24 glc dlc
	s_waitcnt vmcnt(0)
	buffer_gl1_inv
	buffer_gl0_inv
	s_clause 0x1
	global_load_dwordx2 v[1:2], v0, s[6:7] offset:40
	global_load_dwordx2 v[5:6], v0, s[6:7]
	s_waitcnt vmcnt(1)
	v_and_b32_e32 v2, v2, v4
	v_and_b32_e32 v1, v1, v3
	v_mul_lo_u32 v2, v2, 24
	v_mul_hi_u32 v7, v1, 24
	v_mul_lo_u32 v1, v1, 24
	v_add_nc_u32_e32 v2, v7, v2
	s_waitcnt vmcnt(0)
	v_add_co_u32 v1, vcc_lo, v5, v1
	v_add_co_ci_u32_e64 v2, null, v6, v2, vcc_lo
	global_load_dwordx2 v[1:2], v[1:2], off glc dlc
	s_waitcnt vmcnt(0)
	global_atomic_cmpswap_x2 v[6:7], v0, v[1:4], s[6:7] offset:24 glc
	s_waitcnt vmcnt(0)
	buffer_gl1_inv
	buffer_gl0_inv
	v_cmpx_ne_u64_e64 v[6:7], v[3:4]
	s_cbranch_execz .LBB7_411
; %bb.408:
	s_mov_b32 s9, 0
	.p2align	6
.LBB7_409:                              ; =>This Inner Loop Header: Depth=1
	s_sleep 1
	s_clause 0x1
	global_load_dwordx2 v[1:2], v0, s[6:7] offset:40
	global_load_dwordx2 v[8:9], v0, s[6:7]
	v_mov_b32_e32 v3, v6
	v_mov_b32_e32 v4, v7
	s_waitcnt vmcnt(1)
	v_and_b32_e32 v1, v1, v3
	v_and_b32_e32 v2, v2, v4
	s_waitcnt vmcnt(0)
	v_mad_u64_u32 v[5:6], null, v1, 24, v[8:9]
	v_mov_b32_e32 v1, v6
	v_mad_u64_u32 v[1:2], null, v2, 24, v[1:2]
	v_mov_b32_e32 v6, v1
	global_load_dwordx2 v[1:2], v[5:6], off glc dlc
	s_waitcnt vmcnt(0)
	global_atomic_cmpswap_x2 v[6:7], v0, v[1:4], s[6:7] offset:24 glc
	s_waitcnt vmcnt(0)
	buffer_gl1_inv
	buffer_gl0_inv
	v_cmp_eq_u64_e32 vcc_lo, v[6:7], v[3:4]
	s_or_b32 s9, vcc_lo, s9
	s_andn2_b32 exec_lo, exec_lo, s9
	s_cbranch_execnz .LBB7_409
; %bb.410:
	s_or_b32 exec_lo, exec_lo, s9
.LBB7_411:
	s_or_b32 exec_lo, exec_lo, s8
.LBB7_412:
	s_or_b32 exec_lo, exec_lo, s5
	v_mov_b32_e32 v5, 0
	v_readfirstlane_b32 s9, v7
	v_readfirstlane_b32 s8, v6
	s_mov_b32 s5, exec_lo
	s_waitcnt lgkmcnt(0)
	s_clause 0x1
	global_load_dwordx2 v[8:9], v5, s[6:7] offset:40
	global_load_dwordx4 v[0:3], v5, s[6:7]
	s_waitcnt vmcnt(1)
	v_readfirstlane_b32 s10, v8
	v_readfirstlane_b32 s11, v9
	s_and_b64 s[10:11], s[10:11], s[8:9]
	s_mul_i32 s12, s11, 24
	s_mul_hi_u32 s13, s10, 24
	s_mul_i32 s14, s10, 24
	s_add_i32 s13, s13, s12
	s_waitcnt vmcnt(0)
	v_add_co_u32 v8, vcc_lo, v0, s14
	v_add_co_ci_u32_e64 v9, null, s13, v1, vcc_lo
	s_and_saveexec_b32 s12, s4
	s_cbranch_execz .LBB7_414
; %bb.413:
	v_mov_b32_e32 v4, s5
	v_mov_b32_e32 v6, 2
	;; [unrolled: 1-line block ×3, first 2 shown]
	global_store_dwordx4 v[8:9], v[4:7], off offset:8
.LBB7_414:
	s_or_b32 exec_lo, exec_lo, s12
	s_lshl_b64 s[10:11], s[10:11], 12
	v_lshlrev_b32_e32 v28, 6, v29
	v_add_co_u32 v2, vcc_lo, v2, s10
	v_add_co_ci_u32_e64 v3, null, s11, v3, vcc_lo
	s_mov_b32 s12, 0
	v_add_co_u32 v10, vcc_lo, v2, v28
	s_mov_b32 s13, s12
	s_mov_b32 s14, s12
	;; [unrolled: 1-line block ×3, first 2 shown]
	v_mov_b32_e32 v4, 33
	v_mov_b32_e32 v6, v5
	;; [unrolled: 1-line block ×3, first 2 shown]
	v_readfirstlane_b32 s10, v2
	v_readfirstlane_b32 s11, v3
	v_mov_b32_e32 v12, s12
	v_add_co_ci_u32_e64 v11, null, 0, v3, vcc_lo
	v_mov_b32_e32 v13, s13
	v_mov_b32_e32 v14, s14
	;; [unrolled: 1-line block ×3, first 2 shown]
	global_store_dwordx4 v28, v[4:7], s[10:11]
	global_store_dwordx4 v28, v[12:15], s[10:11] offset:16
	global_store_dwordx4 v28, v[12:15], s[10:11] offset:32
	;; [unrolled: 1-line block ×3, first 2 shown]
	s_and_saveexec_b32 s5, s4
	s_cbranch_execz .LBB7_422
; %bb.415:
	v_mov_b32_e32 v6, 0
	v_mov_b32_e32 v12, s8
	;; [unrolled: 1-line block ×3, first 2 shown]
	s_mov_b32 s10, exec_lo
	s_clause 0x1
	global_load_dwordx2 v[14:15], v6, s[6:7] offset:32 glc dlc
	global_load_dwordx2 v[2:3], v6, s[6:7] offset:40
	s_waitcnt vmcnt(0)
	v_and_b32_e32 v3, s9, v3
	v_and_b32_e32 v2, s8, v2
	v_mul_lo_u32 v3, v3, 24
	v_mul_hi_u32 v4, v2, 24
	v_mul_lo_u32 v2, v2, 24
	v_add_nc_u32_e32 v3, v4, v3
	v_add_co_u32 v4, vcc_lo, v0, v2
	v_add_co_ci_u32_e64 v5, null, v1, v3, vcc_lo
	global_store_dwordx2 v[4:5], v[14:15], off
	s_waitcnt_vscnt null, 0x0
	global_atomic_cmpswap_x2 v[2:3], v6, v[12:15], s[6:7] offset:32 glc
	s_waitcnt vmcnt(0)
	v_cmpx_ne_u64_e64 v[2:3], v[14:15]
	s_cbranch_execz .LBB7_418
; %bb.416:
	s_mov_b32 s11, 0
.LBB7_417:                              ; =>This Inner Loop Header: Depth=1
	v_mov_b32_e32 v0, s8
	v_mov_b32_e32 v1, s9
	s_sleep 1
	global_store_dwordx2 v[4:5], v[2:3], off
	s_waitcnt_vscnt null, 0x0
	global_atomic_cmpswap_x2 v[0:1], v6, v[0:3], s[6:7] offset:32 glc
	s_waitcnt vmcnt(0)
	v_cmp_eq_u64_e32 vcc_lo, v[0:1], v[2:3]
	v_mov_b32_e32 v3, v1
	v_mov_b32_e32 v2, v0
	s_or_b32 s11, vcc_lo, s11
	s_andn2_b32 exec_lo, exec_lo, s11
	s_cbranch_execnz .LBB7_417
.LBB7_418:
	s_or_b32 exec_lo, exec_lo, s10
	v_mov_b32_e32 v3, 0
	s_mov_b32 s11, exec_lo
	s_mov_b32 s10, exec_lo
	v_mbcnt_lo_u32_b32 v2, s11, 0
	global_load_dwordx2 v[0:1], v3, s[6:7] offset:16
	v_cmpx_eq_u32_e32 0, v2
	s_cbranch_execz .LBB7_420
; %bb.419:
	s_bcnt1_i32_b32 s11, s11
	v_mov_b32_e32 v2, s11
	s_waitcnt vmcnt(0)
	global_atomic_add_x2 v[0:1], v[2:3], off offset:8
.LBB7_420:
	s_or_b32 exec_lo, exec_lo, s10
	s_waitcnt vmcnt(0)
	global_load_dwordx2 v[2:3], v[0:1], off offset:16
	s_waitcnt vmcnt(0)
	v_cmp_eq_u64_e32 vcc_lo, 0, v[2:3]
	s_cbranch_vccnz .LBB7_422
; %bb.421:
	global_load_dword v0, v[0:1], off offset:24
	v_mov_b32_e32 v1, 0
	s_waitcnt vmcnt(0)
	v_readfirstlane_b32 s10, v0
	s_waitcnt_vscnt null, 0x0
	global_store_dwordx2 v[2:3], v[0:1], off
	s_and_b32 m0, s10, 0x7fffff
	s_sendmsg sendmsg(MSG_INTERRUPT)
.LBB7_422:
	s_or_b32 exec_lo, exec_lo, s5
	s_branch .LBB7_426
	.p2align	6
.LBB7_423:                              ;   in Loop: Header=BB7_426 Depth=1
	s_or_b32 exec_lo, exec_lo, s5
	v_readfirstlane_b32 s5, v0
	s_cmp_eq_u32 s5, 0
	s_cbranch_scc1 .LBB7_425
; %bb.424:                              ;   in Loop: Header=BB7_426 Depth=1
	s_sleep 1
	s_cbranch_execnz .LBB7_426
	s_branch .LBB7_592
	.p2align	6
.LBB7_425:
	s_branch .LBB7_592
.LBB7_426:                              ; =>This Inner Loop Header: Depth=1
	v_mov_b32_e32 v0, 1
	s_and_saveexec_b32 s5, s4
	s_cbranch_execz .LBB7_423
; %bb.427:                              ;   in Loop: Header=BB7_426 Depth=1
	global_load_dword v0, v[8:9], off offset:20 glc dlc
	s_waitcnt vmcnt(0)
	buffer_gl1_inv
	buffer_gl0_inv
	v_and_b32_e32 v0, 1, v0
	s_branch .LBB7_423
.LBB7_428:
	global_load_dwordx2 v[0:1], v[10:11], off
	s_and_saveexec_b32 s10, s4
	s_cbranch_execz .LBB7_432
; %bb.429:
	v_mov_b32_e32 v8, 0
	s_clause 0x2
	global_load_dwordx2 v[2:3], v8, s[6:7] offset:40
	global_load_dwordx2 v[11:12], v8, s[6:7] offset:24 glc dlc
	global_load_dwordx2 v[4:5], v8, s[6:7]
	s_waitcnt vmcnt(2)
	v_readfirstlane_b32 s12, v2
	v_readfirstlane_b32 s13, v3
	s_add_u32 s11, s12, 1
	s_addc_u32 s14, s13, 0
	s_add_u32 s4, s11, s8
	s_addc_u32 s5, s14, s9
	s_cmp_eq_u64 s[4:5], 0
	s_cselect_b32 s5, s14, s5
	s_cselect_b32 s4, s11, s4
	v_mov_b32_e32 v10, s5
	s_and_b64 s[8:9], s[4:5], s[12:13]
	v_mov_b32_e32 v9, s4
	s_mul_i32 s9, s9, 24
	s_mul_hi_u32 s11, s8, 24
	s_mul_i32 s8, s8, 24
	s_add_i32 s11, s11, s9
	s_waitcnt vmcnt(0)
	v_add_co_u32 v6, vcc_lo, v4, s8
	v_add_co_ci_u32_e64 v7, null, s11, v5, vcc_lo
	global_store_dwordx2 v[6:7], v[11:12], off
	s_waitcnt_vscnt null, 0x0
	global_atomic_cmpswap_x2 v[4:5], v8, v[9:12], s[6:7] offset:24 glc
	s_waitcnt vmcnt(0)
	v_cmp_ne_u64_e32 vcc_lo, v[4:5], v[11:12]
	s_and_b32 exec_lo, exec_lo, vcc_lo
	s_cbranch_execz .LBB7_432
; %bb.430:
	s_mov_b32 s8, 0
.LBB7_431:                              ; =>This Inner Loop Header: Depth=1
	v_mov_b32_e32 v2, s4
	v_mov_b32_e32 v3, s5
	s_sleep 1
	global_store_dwordx2 v[6:7], v[4:5], off
	s_waitcnt_vscnt null, 0x0
	global_atomic_cmpswap_x2 v[2:3], v8, v[2:5], s[6:7] offset:24 glc
	s_waitcnt vmcnt(0)
	v_cmp_eq_u64_e32 vcc_lo, v[2:3], v[4:5]
	v_mov_b32_e32 v5, v3
	v_mov_b32_e32 v4, v2
	s_or_b32 s8, vcc_lo, s8
	s_andn2_b32 exec_lo, exec_lo, s8
	s_cbranch_execnz .LBB7_431
.LBB7_432:
	s_or_b32 exec_lo, exec_lo, s10
	s_getpc_b64 s[8:9]
	s_add_u32 s8, s8, .str.28@rel32@lo+4
	s_addc_u32 s9, s9, .str.28@rel32@hi+12
	s_cmp_lg_u64 s[8:9], 0
	s_cbranch_scc0 .LBB7_677
; %bb.433:
	s_waitcnt vmcnt(0)
	v_and_b32_e32 v6, -3, v0
	v_mov_b32_e32 v7, v1
	v_mov_b32_e32 v3, 0
	;; [unrolled: 1-line block ×4, first 2 shown]
	s_mov_b64 s[10:11], 35
	s_branch .LBB7_435
.LBB7_434:                              ;   in Loop: Header=BB7_435 Depth=1
	s_or_b32 exec_lo, exec_lo, s16
	s_sub_u32 s10, s10, s12
	s_subb_u32 s11, s11, s13
	s_add_u32 s8, s8, s12
	s_addc_u32 s9, s9, s13
	s_cmp_lg_u64 s[10:11], 0
	s_cbranch_scc0 .LBB7_674
.LBB7_435:                              ; =>This Loop Header: Depth=1
                                        ;     Child Loop BB7_438 Depth 2
                                        ;     Child Loop BB7_445 Depth 2
                                        ;     Child Loop BB7_452 Depth 2
                                        ;     Child Loop BB7_459 Depth 2
                                        ;     Child Loop BB7_466 Depth 2
                                        ;     Child Loop BB7_473 Depth 2
                                        ;     Child Loop BB7_480 Depth 2
                                        ;     Child Loop BB7_487 Depth 2
                                        ;     Child Loop BB7_495 Depth 2
                                        ;     Child Loop BB7_504 Depth 2
                                        ;     Child Loop BB7_509 Depth 2
	v_cmp_lt_u64_e64 s4, s[10:11], 56
	v_cmp_gt_u64_e64 s14, s[10:11], 7
	s_and_b32 s4, s4, exec_lo
	s_cselect_b32 s13, s11, 0
	s_cselect_b32 s12, s10, 56
	s_add_u32 s4, s8, 8
	s_addc_u32 s5, s9, 0
	s_and_b32 vcc_lo, exec_lo, s14
	s_cbranch_vccnz .LBB7_440
; %bb.436:                              ;   in Loop: Header=BB7_435 Depth=1
	s_waitcnt vmcnt(0)
	v_mov_b32_e32 v8, 0
	v_mov_b32_e32 v9, 0
	s_cmp_eq_u64 s[10:11], 0
	s_cbranch_scc1 .LBB7_439
; %bb.437:                              ;   in Loop: Header=BB7_435 Depth=1
	s_lshl_b64 s[4:5], s[12:13], 3
	s_mov_b64 s[14:15], 0
	s_mov_b64 s[16:17], s[8:9]
.LBB7_438:                              ;   Parent Loop BB7_435 Depth=1
                                        ; =>  This Inner Loop Header: Depth=2
	global_load_ubyte v2, v3, s[16:17]
	s_waitcnt vmcnt(0)
	v_and_b32_e32 v2, 0xffff, v2
	v_lshlrev_b64 v[10:11], s14, v[2:3]
	s_add_u32 s14, s14, 8
	s_addc_u32 s15, s15, 0
	s_add_u32 s16, s16, 1
	s_addc_u32 s17, s17, 0
	s_cmp_lg_u32 s4, s14
	v_or_b32_e32 v8, v10, v8
	v_or_b32_e32 v9, v11, v9
	s_cbranch_scc1 .LBB7_438
.LBB7_439:                              ;   in Loop: Header=BB7_435 Depth=1
	s_mov_b64 s[4:5], s[8:9]
	s_mov_b32 s18, 0
	s_cbranch_execz .LBB7_441
	s_branch .LBB7_442
.LBB7_440:                              ;   in Loop: Header=BB7_435 Depth=1
	s_mov_b32 s18, 0
.LBB7_441:                              ;   in Loop: Header=BB7_435 Depth=1
	global_load_dwordx2 v[8:9], v3, s[8:9]
	s_add_i32 s18, s12, -8
.LBB7_442:                              ;   in Loop: Header=BB7_435 Depth=1
	s_add_u32 s14, s4, 8
	s_addc_u32 s15, s5, 0
	s_cmp_gt_u32 s18, 7
	s_cbranch_scc1 .LBB7_447
; %bb.443:                              ;   in Loop: Header=BB7_435 Depth=1
	v_mov_b32_e32 v10, 0
	v_mov_b32_e32 v11, 0
	s_cmp_eq_u32 s18, 0
	s_cbranch_scc1 .LBB7_446
; %bb.444:                              ;   in Loop: Header=BB7_435 Depth=1
	s_mov_b64 s[14:15], 0
	s_mov_b64 s[16:17], 0
.LBB7_445:                              ;   Parent Loop BB7_435 Depth=1
                                        ; =>  This Inner Loop Header: Depth=2
	s_add_u32 s30, s4, s16
	s_addc_u32 s31, s5, s17
	s_add_u32 s16, s16, 1
	global_load_ubyte v2, v3, s[30:31]
	s_addc_u32 s17, s17, 0
	s_waitcnt vmcnt(0)
	v_and_b32_e32 v2, 0xffff, v2
	v_lshlrev_b64 v[12:13], s14, v[2:3]
	s_add_u32 s14, s14, 8
	s_addc_u32 s15, s15, 0
	s_cmp_lg_u32 s18, s16
	v_or_b32_e32 v10, v12, v10
	v_or_b32_e32 v11, v13, v11
	s_cbranch_scc1 .LBB7_445
.LBB7_446:                              ;   in Loop: Header=BB7_435 Depth=1
	s_mov_b64 s[14:15], s[4:5]
	s_mov_b32 s19, 0
	s_cbranch_execz .LBB7_448
	s_branch .LBB7_449
.LBB7_447:                              ;   in Loop: Header=BB7_435 Depth=1
                                        ; implicit-def: $vgpr10_vgpr11
	s_mov_b32 s19, 0
.LBB7_448:                              ;   in Loop: Header=BB7_435 Depth=1
	global_load_dwordx2 v[10:11], v3, s[4:5]
	s_add_i32 s19, s18, -8
.LBB7_449:                              ;   in Loop: Header=BB7_435 Depth=1
	s_add_u32 s4, s14, 8
	s_addc_u32 s5, s15, 0
	s_cmp_gt_u32 s19, 7
	s_cbranch_scc1 .LBB7_454
; %bb.450:                              ;   in Loop: Header=BB7_435 Depth=1
	v_mov_b32_e32 v12, 0
	v_mov_b32_e32 v13, 0
	s_cmp_eq_u32 s19, 0
	s_cbranch_scc1 .LBB7_453
; %bb.451:                              ;   in Loop: Header=BB7_435 Depth=1
	s_mov_b64 s[4:5], 0
	s_mov_b64 s[16:17], 0
.LBB7_452:                              ;   Parent Loop BB7_435 Depth=1
                                        ; =>  This Inner Loop Header: Depth=2
	s_add_u32 s30, s14, s16
	s_addc_u32 s31, s15, s17
	s_add_u32 s16, s16, 1
	global_load_ubyte v2, v3, s[30:31]
	s_addc_u32 s17, s17, 0
	s_waitcnt vmcnt(0)
	v_and_b32_e32 v2, 0xffff, v2
	v_lshlrev_b64 v[14:15], s4, v[2:3]
	s_add_u32 s4, s4, 8
	s_addc_u32 s5, s5, 0
	s_cmp_lg_u32 s19, s16
	v_or_b32_e32 v12, v14, v12
	v_or_b32_e32 v13, v15, v13
	s_cbranch_scc1 .LBB7_452
.LBB7_453:                              ;   in Loop: Header=BB7_435 Depth=1
	s_mov_b64 s[4:5], s[14:15]
	s_mov_b32 s18, 0
	s_cbranch_execz .LBB7_455
	s_branch .LBB7_456
.LBB7_454:                              ;   in Loop: Header=BB7_435 Depth=1
	s_mov_b32 s18, 0
.LBB7_455:                              ;   in Loop: Header=BB7_435 Depth=1
	global_load_dwordx2 v[12:13], v3, s[14:15]
	s_add_i32 s18, s19, -8
.LBB7_456:                              ;   in Loop: Header=BB7_435 Depth=1
	s_add_u32 s14, s4, 8
	s_addc_u32 s15, s5, 0
	s_cmp_gt_u32 s18, 7
	s_cbranch_scc1 .LBB7_461
; %bb.457:                              ;   in Loop: Header=BB7_435 Depth=1
	v_mov_b32_e32 v14, 0
	v_mov_b32_e32 v15, 0
	s_cmp_eq_u32 s18, 0
	s_cbranch_scc1 .LBB7_460
; %bb.458:                              ;   in Loop: Header=BB7_435 Depth=1
	s_mov_b64 s[14:15], 0
	s_mov_b64 s[16:17], 0
.LBB7_459:                              ;   Parent Loop BB7_435 Depth=1
                                        ; =>  This Inner Loop Header: Depth=2
	s_add_u32 s30, s4, s16
	s_addc_u32 s31, s5, s17
	s_add_u32 s16, s16, 1
	global_load_ubyte v2, v3, s[30:31]
	s_addc_u32 s17, s17, 0
	s_waitcnt vmcnt(0)
	v_and_b32_e32 v2, 0xffff, v2
	v_lshlrev_b64 v[16:17], s14, v[2:3]
	s_add_u32 s14, s14, 8
	s_addc_u32 s15, s15, 0
	s_cmp_lg_u32 s18, s16
	v_or_b32_e32 v14, v16, v14
	v_or_b32_e32 v15, v17, v15
	s_cbranch_scc1 .LBB7_459
.LBB7_460:                              ;   in Loop: Header=BB7_435 Depth=1
	s_mov_b64 s[14:15], s[4:5]
	s_mov_b32 s19, 0
	s_cbranch_execz .LBB7_462
	s_branch .LBB7_463
.LBB7_461:                              ;   in Loop: Header=BB7_435 Depth=1
                                        ; implicit-def: $vgpr14_vgpr15
	s_mov_b32 s19, 0
.LBB7_462:                              ;   in Loop: Header=BB7_435 Depth=1
	global_load_dwordx2 v[14:15], v3, s[4:5]
	s_add_i32 s19, s18, -8
.LBB7_463:                              ;   in Loop: Header=BB7_435 Depth=1
	s_add_u32 s4, s14, 8
	s_addc_u32 s5, s15, 0
	s_cmp_gt_u32 s19, 7
	s_cbranch_scc1 .LBB7_468
; %bb.464:                              ;   in Loop: Header=BB7_435 Depth=1
	v_mov_b32_e32 v16, 0
	v_mov_b32_e32 v17, 0
	s_cmp_eq_u32 s19, 0
	s_cbranch_scc1 .LBB7_467
; %bb.465:                              ;   in Loop: Header=BB7_435 Depth=1
	s_mov_b64 s[4:5], 0
	s_mov_b64 s[16:17], 0
.LBB7_466:                              ;   Parent Loop BB7_435 Depth=1
                                        ; =>  This Inner Loop Header: Depth=2
	s_add_u32 s30, s14, s16
	s_addc_u32 s31, s15, s17
	s_add_u32 s16, s16, 1
	global_load_ubyte v2, v3, s[30:31]
	s_addc_u32 s17, s17, 0
	s_waitcnt vmcnt(0)
	v_and_b32_e32 v2, 0xffff, v2
	v_lshlrev_b64 v[18:19], s4, v[2:3]
	s_add_u32 s4, s4, 8
	s_addc_u32 s5, s5, 0
	s_cmp_lg_u32 s19, s16
	v_or_b32_e32 v16, v18, v16
	v_or_b32_e32 v17, v19, v17
	s_cbranch_scc1 .LBB7_466
.LBB7_467:                              ;   in Loop: Header=BB7_435 Depth=1
	s_mov_b64 s[4:5], s[14:15]
	s_mov_b32 s18, 0
	s_cbranch_execz .LBB7_469
	s_branch .LBB7_470
.LBB7_468:                              ;   in Loop: Header=BB7_435 Depth=1
	s_mov_b32 s18, 0
.LBB7_469:                              ;   in Loop: Header=BB7_435 Depth=1
	global_load_dwordx2 v[16:17], v3, s[14:15]
	s_add_i32 s18, s19, -8
.LBB7_470:                              ;   in Loop: Header=BB7_435 Depth=1
	s_add_u32 s14, s4, 8
	s_addc_u32 s15, s5, 0
	s_cmp_gt_u32 s18, 7
	s_cbranch_scc1 .LBB7_475
; %bb.471:                              ;   in Loop: Header=BB7_435 Depth=1
	v_mov_b32_e32 v18, 0
	v_mov_b32_e32 v19, 0
	s_cmp_eq_u32 s18, 0
	s_cbranch_scc1 .LBB7_474
; %bb.472:                              ;   in Loop: Header=BB7_435 Depth=1
	s_mov_b64 s[14:15], 0
	s_mov_b64 s[16:17], 0
.LBB7_473:                              ;   Parent Loop BB7_435 Depth=1
                                        ; =>  This Inner Loop Header: Depth=2
	s_add_u32 s30, s4, s16
	s_addc_u32 s31, s5, s17
	s_add_u32 s16, s16, 1
	global_load_ubyte v2, v3, s[30:31]
	s_addc_u32 s17, s17, 0
	s_waitcnt vmcnt(0)
	v_and_b32_e32 v2, 0xffff, v2
	v_lshlrev_b64 v[20:21], s14, v[2:3]
	s_add_u32 s14, s14, 8
	s_addc_u32 s15, s15, 0
	s_cmp_lg_u32 s18, s16
	v_or_b32_e32 v18, v20, v18
	v_or_b32_e32 v19, v21, v19
	s_cbranch_scc1 .LBB7_473
.LBB7_474:                              ;   in Loop: Header=BB7_435 Depth=1
	s_mov_b64 s[14:15], s[4:5]
	s_mov_b32 s19, 0
	s_cbranch_execz .LBB7_476
	s_branch .LBB7_477
.LBB7_475:                              ;   in Loop: Header=BB7_435 Depth=1
                                        ; implicit-def: $vgpr18_vgpr19
	s_mov_b32 s19, 0
.LBB7_476:                              ;   in Loop: Header=BB7_435 Depth=1
	global_load_dwordx2 v[18:19], v3, s[4:5]
	s_add_i32 s19, s18, -8
.LBB7_477:                              ;   in Loop: Header=BB7_435 Depth=1
	s_cmp_gt_u32 s19, 7
	s_cbranch_scc1 .LBB7_482
; %bb.478:                              ;   in Loop: Header=BB7_435 Depth=1
	v_mov_b32_e32 v20, 0
	v_mov_b32_e32 v21, 0
	s_cmp_eq_u32 s19, 0
	s_cbranch_scc1 .LBB7_481
; %bb.479:                              ;   in Loop: Header=BB7_435 Depth=1
	s_mov_b64 s[4:5], 0
	s_mov_b64 s[16:17], s[14:15]
.LBB7_480:                              ;   Parent Loop BB7_435 Depth=1
                                        ; =>  This Inner Loop Header: Depth=2
	global_load_ubyte v2, v3, s[16:17]
	s_add_i32 s19, s19, -1
	s_waitcnt vmcnt(0)
	v_and_b32_e32 v2, 0xffff, v2
	v_lshlrev_b64 v[22:23], s4, v[2:3]
	s_add_u32 s4, s4, 8
	s_addc_u32 s5, s5, 0
	s_add_u32 s16, s16, 1
	s_addc_u32 s17, s17, 0
	s_cmp_lg_u32 s19, 0
	v_or_b32_e32 v20, v22, v20
	v_or_b32_e32 v21, v23, v21
	s_cbranch_scc1 .LBB7_480
.LBB7_481:                              ;   in Loop: Header=BB7_435 Depth=1
	s_cbranch_execz .LBB7_483
	s_branch .LBB7_484
.LBB7_482:                              ;   in Loop: Header=BB7_435 Depth=1
.LBB7_483:                              ;   in Loop: Header=BB7_435 Depth=1
	global_load_dwordx2 v[20:21], v3, s[14:15]
.LBB7_484:                              ;   in Loop: Header=BB7_435 Depth=1
	v_readfirstlane_b32 s4, v29
	v_mov_b32_e32 v26, 0
	v_mov_b32_e32 v27, 0
	v_cmp_eq_u32_e64 s4, s4, v29
	s_and_saveexec_b32 s5, s4
	s_cbranch_execz .LBB7_490
; %bb.485:                              ;   in Loop: Header=BB7_435 Depth=1
	global_load_dwordx2 v[24:25], v3, s[6:7] offset:24 glc dlc
	s_waitcnt vmcnt(0)
	buffer_gl1_inv
	buffer_gl0_inv
	s_clause 0x1
	global_load_dwordx2 v[22:23], v3, s[6:7] offset:40
	global_load_dwordx2 v[26:27], v3, s[6:7]
	s_mov_b32 s14, exec_lo
	s_waitcnt vmcnt(1)
	v_and_b32_e32 v2, v23, v25
	v_and_b32_e32 v22, v22, v24
	v_mul_lo_u32 v2, v2, 24
	v_mul_hi_u32 v23, v22, 24
	v_mul_lo_u32 v22, v22, 24
	v_add_nc_u32_e32 v2, v23, v2
	s_waitcnt vmcnt(0)
	v_add_co_u32 v22, vcc_lo, v26, v22
	v_add_co_ci_u32_e64 v23, null, v27, v2, vcc_lo
	global_load_dwordx2 v[22:23], v[22:23], off glc dlc
	s_waitcnt vmcnt(0)
	global_atomic_cmpswap_x2 v[26:27], v3, v[22:25], s[6:7] offset:24 glc
	s_waitcnt vmcnt(0)
	buffer_gl1_inv
	buffer_gl0_inv
	v_cmpx_ne_u64_e64 v[26:27], v[24:25]
	s_cbranch_execz .LBB7_489
; %bb.486:                              ;   in Loop: Header=BB7_435 Depth=1
	s_mov_b32 s15, 0
	.p2align	6
.LBB7_487:                              ;   Parent Loop BB7_435 Depth=1
                                        ; =>  This Inner Loop Header: Depth=2
	s_sleep 1
	s_clause 0x1
	global_load_dwordx2 v[22:23], v3, s[6:7] offset:40
	global_load_dwordx2 v[30:31], v3, s[6:7]
	v_mov_b32_e32 v24, v26
	v_mov_b32_e32 v25, v27
	s_waitcnt vmcnt(1)
	v_and_b32_e32 v2, v22, v24
	v_and_b32_e32 v22, v23, v25
	s_waitcnt vmcnt(0)
	v_mad_u64_u32 v[26:27], null, v2, 24, v[30:31]
	v_mov_b32_e32 v2, v27
	v_mad_u64_u32 v[22:23], null, v22, 24, v[2:3]
	v_mov_b32_e32 v27, v22
	global_load_dwordx2 v[22:23], v[26:27], off glc dlc
	s_waitcnt vmcnt(0)
	global_atomic_cmpswap_x2 v[26:27], v3, v[22:25], s[6:7] offset:24 glc
	s_waitcnt vmcnt(0)
	buffer_gl1_inv
	buffer_gl0_inv
	v_cmp_eq_u64_e32 vcc_lo, v[26:27], v[24:25]
	s_or_b32 s15, vcc_lo, s15
	s_andn2_b32 exec_lo, exec_lo, s15
	s_cbranch_execnz .LBB7_487
; %bb.488:                              ;   in Loop: Header=BB7_435 Depth=1
	s_or_b32 exec_lo, exec_lo, s15
.LBB7_489:                              ;   in Loop: Header=BB7_435 Depth=1
	s_or_b32 exec_lo, exec_lo, s14
.LBB7_490:                              ;   in Loop: Header=BB7_435 Depth=1
	s_or_b32 exec_lo, exec_lo, s5
	s_clause 0x1
	global_load_dwordx2 v[30:31], v3, s[6:7] offset:40
	global_load_dwordx4 v[22:25], v3, s[6:7]
	v_readfirstlane_b32 s15, v27
	v_readfirstlane_b32 s14, v26
	s_mov_b32 s5, exec_lo
	s_waitcnt vmcnt(1)
	v_readfirstlane_b32 s16, v30
	v_readfirstlane_b32 s17, v31
	s_and_b64 s[16:17], s[16:17], s[14:15]
	s_mul_i32 s18, s17, 24
	s_mul_hi_u32 s19, s16, 24
	s_mul_i32 s20, s16, 24
	s_add_i32 s19, s19, s18
	s_waitcnt vmcnt(0)
	v_add_co_u32 v26, vcc_lo, v22, s20
	v_add_co_ci_u32_e64 v27, null, s19, v23, vcc_lo
	s_and_saveexec_b32 s18, s4
	s_cbranch_execz .LBB7_492
; %bb.491:                              ;   in Loop: Header=BB7_435 Depth=1
	v_mov_b32_e32 v2, s5
	global_store_dwordx4 v[26:27], v[2:5], off offset:8
.LBB7_492:                              ;   in Loop: Header=BB7_435 Depth=1
	s_or_b32 exec_lo, exec_lo, s18
	v_cmp_gt_u64_e64 s5, s[10:11], 56
	s_lshl_b64 s[16:17], s[16:17], 12
	v_and_b32_e32 v2, 0xffffff1f, v6
	v_add_co_u32 v24, vcc_lo, v24, s16
	v_add_co_ci_u32_e64 v25, null, s17, v25, vcc_lo
	s_and_b32 s5, s5, exec_lo
	s_cselect_b32 s5, 0, 2
	s_lshl_b32 s18, s12, 2
	v_or_b32_e32 v2, s5, v2
	v_readfirstlane_b32 s16, v24
	v_readfirstlane_b32 s17, v25
	s_add_i32 s18, s18, 28
	v_and_or_b32 v6, 0x1e0, s18, v2
	global_store_dwordx4 v28, v[10:13], s[16:17] offset:16
	global_store_dwordx4 v28, v[14:17], s[16:17] offset:32
	global_store_dwordx4 v28, v[6:9], s[16:17]
	global_store_dwordx4 v28, v[18:21], s[16:17] offset:48
	s_and_saveexec_b32 s5, s4
	s_cbranch_execz .LBB7_500
; %bb.493:                              ;   in Loop: Header=BB7_435 Depth=1
	s_clause 0x1
	global_load_dwordx2 v[14:15], v3, s[6:7] offset:32 glc dlc
	global_load_dwordx2 v[6:7], v3, s[6:7] offset:40
	v_mov_b32_e32 v12, s14
	v_mov_b32_e32 v13, s15
	s_waitcnt vmcnt(0)
	v_readfirstlane_b32 s16, v6
	v_readfirstlane_b32 s17, v7
	s_and_b64 s[16:17], s[16:17], s[14:15]
	s_mul_i32 s17, s17, 24
	s_mul_hi_u32 s18, s16, 24
	s_mul_i32 s16, s16, 24
	s_add_i32 s18, s18, s17
	v_add_co_u32 v10, vcc_lo, v22, s16
	v_add_co_ci_u32_e64 v11, null, s18, v23, vcc_lo
	s_mov_b32 s16, exec_lo
	global_store_dwordx2 v[10:11], v[14:15], off
	s_waitcnt_vscnt null, 0x0
	global_atomic_cmpswap_x2 v[8:9], v3, v[12:15], s[6:7] offset:32 glc
	s_waitcnt vmcnt(0)
	v_cmpx_ne_u64_e64 v[8:9], v[14:15]
	s_cbranch_execz .LBB7_496
; %bb.494:                              ;   in Loop: Header=BB7_435 Depth=1
	s_mov_b32 s17, 0
.LBB7_495:                              ;   Parent Loop BB7_435 Depth=1
                                        ; =>  This Inner Loop Header: Depth=2
	v_mov_b32_e32 v6, s14
	v_mov_b32_e32 v7, s15
	s_sleep 1
	global_store_dwordx2 v[10:11], v[8:9], off
	s_waitcnt_vscnt null, 0x0
	global_atomic_cmpswap_x2 v[6:7], v3, v[6:9], s[6:7] offset:32 glc
	s_waitcnt vmcnt(0)
	v_cmp_eq_u64_e32 vcc_lo, v[6:7], v[8:9]
	v_mov_b32_e32 v9, v7
	v_mov_b32_e32 v8, v6
	s_or_b32 s17, vcc_lo, s17
	s_andn2_b32 exec_lo, exec_lo, s17
	s_cbranch_execnz .LBB7_495
.LBB7_496:                              ;   in Loop: Header=BB7_435 Depth=1
	s_or_b32 exec_lo, exec_lo, s16
	global_load_dwordx2 v[6:7], v3, s[6:7] offset:16
	s_mov_b32 s17, exec_lo
	s_mov_b32 s16, exec_lo
	v_mbcnt_lo_u32_b32 v2, s17, 0
	v_cmpx_eq_u32_e32 0, v2
	s_cbranch_execz .LBB7_498
; %bb.497:                              ;   in Loop: Header=BB7_435 Depth=1
	s_bcnt1_i32_b32 s17, s17
	v_mov_b32_e32 v2, s17
	s_waitcnt vmcnt(0)
	global_atomic_add_x2 v[6:7], v[2:3], off offset:8
.LBB7_498:                              ;   in Loop: Header=BB7_435 Depth=1
	s_or_b32 exec_lo, exec_lo, s16
	s_waitcnt vmcnt(0)
	global_load_dwordx2 v[8:9], v[6:7], off offset:16
	s_waitcnt vmcnt(0)
	v_cmp_eq_u64_e32 vcc_lo, 0, v[8:9]
	s_cbranch_vccnz .LBB7_500
; %bb.499:                              ;   in Loop: Header=BB7_435 Depth=1
	global_load_dword v2, v[6:7], off offset:24
	s_waitcnt vmcnt(0)
	v_readfirstlane_b32 s16, v2
	s_waitcnt_vscnt null, 0x0
	global_store_dwordx2 v[8:9], v[2:3], off
	s_and_b32 m0, s16, 0x7fffff
	s_sendmsg sendmsg(MSG_INTERRUPT)
.LBB7_500:                              ;   in Loop: Header=BB7_435 Depth=1
	s_or_b32 exec_lo, exec_lo, s5
	v_add_co_u32 v6, vcc_lo, v24, v28
	v_add_co_ci_u32_e64 v7, null, 0, v25, vcc_lo
	s_branch .LBB7_504
	.p2align	6
.LBB7_501:                              ;   in Loop: Header=BB7_504 Depth=2
	s_or_b32 exec_lo, exec_lo, s5
	v_readfirstlane_b32 s5, v2
	s_cmp_eq_u32 s5, 0
	s_cbranch_scc1 .LBB7_503
; %bb.502:                              ;   in Loop: Header=BB7_504 Depth=2
	s_sleep 1
	s_cbranch_execnz .LBB7_504
	s_branch .LBB7_506
	.p2align	6
.LBB7_503:                              ;   in Loop: Header=BB7_435 Depth=1
	s_branch .LBB7_506
.LBB7_504:                              ;   Parent Loop BB7_435 Depth=1
                                        ; =>  This Inner Loop Header: Depth=2
	v_mov_b32_e32 v2, 1
	s_and_saveexec_b32 s5, s4
	s_cbranch_execz .LBB7_501
; %bb.505:                              ;   in Loop: Header=BB7_504 Depth=2
	global_load_dword v2, v[26:27], off offset:20 glc dlc
	s_waitcnt vmcnt(0)
	buffer_gl1_inv
	buffer_gl0_inv
	v_and_b32_e32 v2, 1, v2
	s_branch .LBB7_501
.LBB7_506:                              ;   in Loop: Header=BB7_435 Depth=1
	global_load_dwordx4 v[6:9], v[6:7], off
	s_and_saveexec_b32 s16, s4
	s_cbranch_execz .LBB7_434
; %bb.507:                              ;   in Loop: Header=BB7_435 Depth=1
	s_clause 0x2
	global_load_dwordx2 v[8:9], v3, s[6:7] offset:40
	global_load_dwordx2 v[16:17], v3, s[6:7] offset:24 glc dlc
	global_load_dwordx2 v[10:11], v3, s[6:7]
	s_waitcnt vmcnt(2)
	v_readfirstlane_b32 s18, v8
	v_readfirstlane_b32 s19, v9
	s_add_u32 s17, s18, 1
	s_addc_u32 s20, s19, 0
	s_add_u32 s4, s17, s14
	s_addc_u32 s5, s20, s15
	s_cmp_eq_u64 s[4:5], 0
	s_cselect_b32 s5, s20, s5
	s_cselect_b32 s4, s17, s4
	v_mov_b32_e32 v15, s5
	s_and_b64 s[14:15], s[4:5], s[18:19]
	v_mov_b32_e32 v14, s4
	s_mul_i32 s15, s15, 24
	s_mul_hi_u32 s17, s14, 24
	s_mul_i32 s14, s14, 24
	s_add_i32 s17, s17, s15
	s_waitcnt vmcnt(0)
	v_add_co_u32 v12, vcc_lo, v10, s14
	v_add_co_ci_u32_e64 v13, null, s17, v11, vcc_lo
	global_store_dwordx2 v[12:13], v[16:17], off
	s_waitcnt_vscnt null, 0x0
	global_atomic_cmpswap_x2 v[10:11], v3, v[14:17], s[6:7] offset:24 glc
	s_waitcnt vmcnt(0)
	v_cmp_ne_u64_e32 vcc_lo, v[10:11], v[16:17]
	s_and_b32 exec_lo, exec_lo, vcc_lo
	s_cbranch_execz .LBB7_434
; %bb.508:                              ;   in Loop: Header=BB7_435 Depth=1
	s_mov_b32 s14, 0
.LBB7_509:                              ;   Parent Loop BB7_435 Depth=1
                                        ; =>  This Inner Loop Header: Depth=2
	v_mov_b32_e32 v8, s4
	v_mov_b32_e32 v9, s5
	s_sleep 1
	global_store_dwordx2 v[12:13], v[10:11], off
	s_waitcnt_vscnt null, 0x0
	global_atomic_cmpswap_x2 v[8:9], v3, v[8:11], s[6:7] offset:24 glc
	s_waitcnt vmcnt(0)
	v_cmp_eq_u64_e32 vcc_lo, v[8:9], v[10:11]
	v_mov_b32_e32 v11, v9
	v_mov_b32_e32 v10, v8
	s_or_b32 s14, vcc_lo, s14
	s_andn2_b32 exec_lo, exec_lo, s14
	s_cbranch_execnz .LBB7_509
	s_branch .LBB7_434
.LBB7_510:
	global_load_dwordx2 v[0:1], v[10:11], off
	s_and_saveexec_b32 s10, s4
	s_cbranch_execz .LBB7_514
; %bb.511:
	v_mov_b32_e32 v8, 0
	s_clause 0x2
	global_load_dwordx2 v[2:3], v8, s[6:7] offset:40
	global_load_dwordx2 v[11:12], v8, s[6:7] offset:24 glc dlc
	global_load_dwordx2 v[4:5], v8, s[6:7]
	s_waitcnt vmcnt(2)
	v_readfirstlane_b32 s12, v2
	v_readfirstlane_b32 s13, v3
	s_add_u32 s11, s12, 1
	s_addc_u32 s14, s13, 0
	s_add_u32 s4, s11, s8
	s_addc_u32 s5, s14, s9
	s_cmp_eq_u64 s[4:5], 0
	s_cselect_b32 s5, s14, s5
	s_cselect_b32 s4, s11, s4
	v_mov_b32_e32 v10, s5
	s_and_b64 s[8:9], s[4:5], s[12:13]
	v_mov_b32_e32 v9, s4
	s_mul_i32 s9, s9, 24
	s_mul_hi_u32 s11, s8, 24
	s_mul_i32 s8, s8, 24
	s_add_i32 s11, s11, s9
	s_waitcnt vmcnt(0)
	v_add_co_u32 v6, vcc_lo, v4, s8
	v_add_co_ci_u32_e64 v7, null, s11, v5, vcc_lo
	global_store_dwordx2 v[6:7], v[11:12], off
	s_waitcnt_vscnt null, 0x0
	global_atomic_cmpswap_x2 v[4:5], v8, v[9:12], s[6:7] offset:24 glc
	s_waitcnt vmcnt(0)
	v_cmp_ne_u64_e32 vcc_lo, v[4:5], v[11:12]
	s_and_b32 exec_lo, exec_lo, vcc_lo
	s_cbranch_execz .LBB7_514
; %bb.512:
	s_mov_b32 s8, 0
.LBB7_513:                              ; =>This Inner Loop Header: Depth=1
	v_mov_b32_e32 v2, s4
	v_mov_b32_e32 v3, s5
	s_sleep 1
	global_store_dwordx2 v[6:7], v[4:5], off
	s_waitcnt_vscnt null, 0x0
	global_atomic_cmpswap_x2 v[2:3], v8, v[2:5], s[6:7] offset:24 glc
	s_waitcnt vmcnt(0)
	v_cmp_eq_u64_e32 vcc_lo, v[2:3], v[4:5]
	v_mov_b32_e32 v5, v3
	v_mov_b32_e32 v4, v2
	s_or_b32 s8, vcc_lo, s8
	s_andn2_b32 exec_lo, exec_lo, s8
	s_cbranch_execnz .LBB7_513
.LBB7_514:
	s_or_b32 exec_lo, exec_lo, s10
	s_getpc_b64 s[8:9]
	s_add_u32 s8, s8, .str.28@rel32@lo+4
	s_addc_u32 s9, s9, .str.28@rel32@hi+12
	s_cmp_lg_u64 s[8:9], 0
	s_cbranch_scc0 .LBB7_708
; %bb.515:
	s_waitcnt vmcnt(0)
	v_and_b32_e32 v6, -3, v0
	v_mov_b32_e32 v7, v1
	v_mov_b32_e32 v3, 0
	;; [unrolled: 1-line block ×4, first 2 shown]
	s_mov_b64 s[10:11], 35
	s_branch .LBB7_517
.LBB7_516:                              ;   in Loop: Header=BB7_517 Depth=1
	s_or_b32 exec_lo, exec_lo, s16
	s_sub_u32 s10, s10, s12
	s_subb_u32 s11, s11, s13
	s_add_u32 s8, s8, s12
	s_addc_u32 s9, s9, s13
	s_cmp_lg_u64 s[10:11], 0
	s_cbranch_scc0 .LBB7_675
.LBB7_517:                              ; =>This Loop Header: Depth=1
                                        ;     Child Loop BB7_520 Depth 2
                                        ;     Child Loop BB7_527 Depth 2
	;; [unrolled: 1-line block ×11, first 2 shown]
	v_cmp_lt_u64_e64 s4, s[10:11], 56
	v_cmp_gt_u64_e64 s14, s[10:11], 7
	s_and_b32 s4, s4, exec_lo
	s_cselect_b32 s13, s11, 0
	s_cselect_b32 s12, s10, 56
	s_add_u32 s4, s8, 8
	s_addc_u32 s5, s9, 0
	s_and_b32 vcc_lo, exec_lo, s14
	s_cbranch_vccnz .LBB7_522
; %bb.518:                              ;   in Loop: Header=BB7_517 Depth=1
	s_waitcnt vmcnt(0)
	v_mov_b32_e32 v8, 0
	v_mov_b32_e32 v9, 0
	s_cmp_eq_u64 s[10:11], 0
	s_cbranch_scc1 .LBB7_521
; %bb.519:                              ;   in Loop: Header=BB7_517 Depth=1
	s_lshl_b64 s[4:5], s[12:13], 3
	s_mov_b64 s[14:15], 0
	s_mov_b64 s[16:17], s[8:9]
.LBB7_520:                              ;   Parent Loop BB7_517 Depth=1
                                        ; =>  This Inner Loop Header: Depth=2
	global_load_ubyte v2, v3, s[16:17]
	s_waitcnt vmcnt(0)
	v_and_b32_e32 v2, 0xffff, v2
	v_lshlrev_b64 v[10:11], s14, v[2:3]
	s_add_u32 s14, s14, 8
	s_addc_u32 s15, s15, 0
	s_add_u32 s16, s16, 1
	s_addc_u32 s17, s17, 0
	s_cmp_lg_u32 s4, s14
	v_or_b32_e32 v8, v10, v8
	v_or_b32_e32 v9, v11, v9
	s_cbranch_scc1 .LBB7_520
.LBB7_521:                              ;   in Loop: Header=BB7_517 Depth=1
	s_mov_b64 s[4:5], s[8:9]
	s_mov_b32 s18, 0
	s_cbranch_execz .LBB7_523
	s_branch .LBB7_524
.LBB7_522:                              ;   in Loop: Header=BB7_517 Depth=1
	s_mov_b32 s18, 0
.LBB7_523:                              ;   in Loop: Header=BB7_517 Depth=1
	global_load_dwordx2 v[8:9], v3, s[8:9]
	s_add_i32 s18, s12, -8
.LBB7_524:                              ;   in Loop: Header=BB7_517 Depth=1
	s_add_u32 s14, s4, 8
	s_addc_u32 s15, s5, 0
	s_cmp_gt_u32 s18, 7
	s_cbranch_scc1 .LBB7_529
; %bb.525:                              ;   in Loop: Header=BB7_517 Depth=1
	v_mov_b32_e32 v10, 0
	v_mov_b32_e32 v11, 0
	s_cmp_eq_u32 s18, 0
	s_cbranch_scc1 .LBB7_528
; %bb.526:                              ;   in Loop: Header=BB7_517 Depth=1
	s_mov_b64 s[14:15], 0
	s_mov_b64 s[16:17], 0
.LBB7_527:                              ;   Parent Loop BB7_517 Depth=1
                                        ; =>  This Inner Loop Header: Depth=2
	s_add_u32 s30, s4, s16
	s_addc_u32 s31, s5, s17
	s_add_u32 s16, s16, 1
	global_load_ubyte v2, v3, s[30:31]
	s_addc_u32 s17, s17, 0
	s_waitcnt vmcnt(0)
	v_and_b32_e32 v2, 0xffff, v2
	v_lshlrev_b64 v[12:13], s14, v[2:3]
	s_add_u32 s14, s14, 8
	s_addc_u32 s15, s15, 0
	s_cmp_lg_u32 s18, s16
	v_or_b32_e32 v10, v12, v10
	v_or_b32_e32 v11, v13, v11
	s_cbranch_scc1 .LBB7_527
.LBB7_528:                              ;   in Loop: Header=BB7_517 Depth=1
	s_mov_b64 s[14:15], s[4:5]
	s_mov_b32 s19, 0
	s_cbranch_execz .LBB7_530
	s_branch .LBB7_531
.LBB7_529:                              ;   in Loop: Header=BB7_517 Depth=1
                                        ; implicit-def: $vgpr10_vgpr11
	s_mov_b32 s19, 0
.LBB7_530:                              ;   in Loop: Header=BB7_517 Depth=1
	global_load_dwordx2 v[10:11], v3, s[4:5]
	s_add_i32 s19, s18, -8
.LBB7_531:                              ;   in Loop: Header=BB7_517 Depth=1
	s_add_u32 s4, s14, 8
	s_addc_u32 s5, s15, 0
	s_cmp_gt_u32 s19, 7
	s_cbranch_scc1 .LBB7_536
; %bb.532:                              ;   in Loop: Header=BB7_517 Depth=1
	v_mov_b32_e32 v12, 0
	v_mov_b32_e32 v13, 0
	s_cmp_eq_u32 s19, 0
	s_cbranch_scc1 .LBB7_535
; %bb.533:                              ;   in Loop: Header=BB7_517 Depth=1
	s_mov_b64 s[4:5], 0
	s_mov_b64 s[16:17], 0
.LBB7_534:                              ;   Parent Loop BB7_517 Depth=1
                                        ; =>  This Inner Loop Header: Depth=2
	s_add_u32 s30, s14, s16
	s_addc_u32 s31, s15, s17
	s_add_u32 s16, s16, 1
	global_load_ubyte v2, v3, s[30:31]
	s_addc_u32 s17, s17, 0
	s_waitcnt vmcnt(0)
	v_and_b32_e32 v2, 0xffff, v2
	v_lshlrev_b64 v[14:15], s4, v[2:3]
	s_add_u32 s4, s4, 8
	s_addc_u32 s5, s5, 0
	s_cmp_lg_u32 s19, s16
	v_or_b32_e32 v12, v14, v12
	v_or_b32_e32 v13, v15, v13
	s_cbranch_scc1 .LBB7_534
.LBB7_535:                              ;   in Loop: Header=BB7_517 Depth=1
	s_mov_b64 s[4:5], s[14:15]
	s_mov_b32 s18, 0
	s_cbranch_execz .LBB7_537
	s_branch .LBB7_538
.LBB7_536:                              ;   in Loop: Header=BB7_517 Depth=1
	s_mov_b32 s18, 0
.LBB7_537:                              ;   in Loop: Header=BB7_517 Depth=1
	global_load_dwordx2 v[12:13], v3, s[14:15]
	s_add_i32 s18, s19, -8
.LBB7_538:                              ;   in Loop: Header=BB7_517 Depth=1
	s_add_u32 s14, s4, 8
	s_addc_u32 s15, s5, 0
	s_cmp_gt_u32 s18, 7
	s_cbranch_scc1 .LBB7_543
; %bb.539:                              ;   in Loop: Header=BB7_517 Depth=1
	v_mov_b32_e32 v14, 0
	v_mov_b32_e32 v15, 0
	s_cmp_eq_u32 s18, 0
	s_cbranch_scc1 .LBB7_542
; %bb.540:                              ;   in Loop: Header=BB7_517 Depth=1
	s_mov_b64 s[14:15], 0
	s_mov_b64 s[16:17], 0
.LBB7_541:                              ;   Parent Loop BB7_517 Depth=1
                                        ; =>  This Inner Loop Header: Depth=2
	s_add_u32 s30, s4, s16
	s_addc_u32 s31, s5, s17
	s_add_u32 s16, s16, 1
	global_load_ubyte v2, v3, s[30:31]
	s_addc_u32 s17, s17, 0
	s_waitcnt vmcnt(0)
	v_and_b32_e32 v2, 0xffff, v2
	v_lshlrev_b64 v[16:17], s14, v[2:3]
	s_add_u32 s14, s14, 8
	s_addc_u32 s15, s15, 0
	s_cmp_lg_u32 s18, s16
	v_or_b32_e32 v14, v16, v14
	v_or_b32_e32 v15, v17, v15
	s_cbranch_scc1 .LBB7_541
.LBB7_542:                              ;   in Loop: Header=BB7_517 Depth=1
	s_mov_b64 s[14:15], s[4:5]
	s_mov_b32 s19, 0
	s_cbranch_execz .LBB7_544
	s_branch .LBB7_545
.LBB7_543:                              ;   in Loop: Header=BB7_517 Depth=1
                                        ; implicit-def: $vgpr14_vgpr15
	s_mov_b32 s19, 0
.LBB7_544:                              ;   in Loop: Header=BB7_517 Depth=1
	global_load_dwordx2 v[14:15], v3, s[4:5]
	s_add_i32 s19, s18, -8
.LBB7_545:                              ;   in Loop: Header=BB7_517 Depth=1
	s_add_u32 s4, s14, 8
	s_addc_u32 s5, s15, 0
	s_cmp_gt_u32 s19, 7
	s_cbranch_scc1 .LBB7_550
; %bb.546:                              ;   in Loop: Header=BB7_517 Depth=1
	v_mov_b32_e32 v16, 0
	v_mov_b32_e32 v17, 0
	s_cmp_eq_u32 s19, 0
	s_cbranch_scc1 .LBB7_549
; %bb.547:                              ;   in Loop: Header=BB7_517 Depth=1
	s_mov_b64 s[4:5], 0
	s_mov_b64 s[16:17], 0
.LBB7_548:                              ;   Parent Loop BB7_517 Depth=1
                                        ; =>  This Inner Loop Header: Depth=2
	s_add_u32 s30, s14, s16
	s_addc_u32 s31, s15, s17
	s_add_u32 s16, s16, 1
	global_load_ubyte v2, v3, s[30:31]
	s_addc_u32 s17, s17, 0
	s_waitcnt vmcnt(0)
	v_and_b32_e32 v2, 0xffff, v2
	v_lshlrev_b64 v[18:19], s4, v[2:3]
	s_add_u32 s4, s4, 8
	s_addc_u32 s5, s5, 0
	s_cmp_lg_u32 s19, s16
	v_or_b32_e32 v16, v18, v16
	v_or_b32_e32 v17, v19, v17
	s_cbranch_scc1 .LBB7_548
.LBB7_549:                              ;   in Loop: Header=BB7_517 Depth=1
	s_mov_b64 s[4:5], s[14:15]
	s_mov_b32 s18, 0
	s_cbranch_execz .LBB7_551
	s_branch .LBB7_552
.LBB7_550:                              ;   in Loop: Header=BB7_517 Depth=1
	s_mov_b32 s18, 0
.LBB7_551:                              ;   in Loop: Header=BB7_517 Depth=1
	global_load_dwordx2 v[16:17], v3, s[14:15]
	s_add_i32 s18, s19, -8
.LBB7_552:                              ;   in Loop: Header=BB7_517 Depth=1
	s_add_u32 s14, s4, 8
	s_addc_u32 s15, s5, 0
	s_cmp_gt_u32 s18, 7
	s_cbranch_scc1 .LBB7_557
; %bb.553:                              ;   in Loop: Header=BB7_517 Depth=1
	v_mov_b32_e32 v18, 0
	v_mov_b32_e32 v19, 0
	s_cmp_eq_u32 s18, 0
	s_cbranch_scc1 .LBB7_556
; %bb.554:                              ;   in Loop: Header=BB7_517 Depth=1
	s_mov_b64 s[14:15], 0
	s_mov_b64 s[16:17], 0
.LBB7_555:                              ;   Parent Loop BB7_517 Depth=1
                                        ; =>  This Inner Loop Header: Depth=2
	s_add_u32 s30, s4, s16
	s_addc_u32 s31, s5, s17
	s_add_u32 s16, s16, 1
	global_load_ubyte v2, v3, s[30:31]
	s_addc_u32 s17, s17, 0
	s_waitcnt vmcnt(0)
	v_and_b32_e32 v2, 0xffff, v2
	v_lshlrev_b64 v[20:21], s14, v[2:3]
	s_add_u32 s14, s14, 8
	s_addc_u32 s15, s15, 0
	s_cmp_lg_u32 s18, s16
	v_or_b32_e32 v18, v20, v18
	v_or_b32_e32 v19, v21, v19
	s_cbranch_scc1 .LBB7_555
.LBB7_556:                              ;   in Loop: Header=BB7_517 Depth=1
	s_mov_b64 s[14:15], s[4:5]
	s_mov_b32 s19, 0
	s_cbranch_execz .LBB7_558
	s_branch .LBB7_559
.LBB7_557:                              ;   in Loop: Header=BB7_517 Depth=1
                                        ; implicit-def: $vgpr18_vgpr19
	s_mov_b32 s19, 0
.LBB7_558:                              ;   in Loop: Header=BB7_517 Depth=1
	global_load_dwordx2 v[18:19], v3, s[4:5]
	s_add_i32 s19, s18, -8
.LBB7_559:                              ;   in Loop: Header=BB7_517 Depth=1
	s_cmp_gt_u32 s19, 7
	s_cbranch_scc1 .LBB7_564
; %bb.560:                              ;   in Loop: Header=BB7_517 Depth=1
	v_mov_b32_e32 v20, 0
	v_mov_b32_e32 v21, 0
	s_cmp_eq_u32 s19, 0
	s_cbranch_scc1 .LBB7_563
; %bb.561:                              ;   in Loop: Header=BB7_517 Depth=1
	s_mov_b64 s[4:5], 0
	s_mov_b64 s[16:17], s[14:15]
.LBB7_562:                              ;   Parent Loop BB7_517 Depth=1
                                        ; =>  This Inner Loop Header: Depth=2
	global_load_ubyte v2, v3, s[16:17]
	s_add_i32 s19, s19, -1
	s_waitcnt vmcnt(0)
	v_and_b32_e32 v2, 0xffff, v2
	v_lshlrev_b64 v[22:23], s4, v[2:3]
	s_add_u32 s4, s4, 8
	s_addc_u32 s5, s5, 0
	s_add_u32 s16, s16, 1
	s_addc_u32 s17, s17, 0
	s_cmp_lg_u32 s19, 0
	v_or_b32_e32 v20, v22, v20
	v_or_b32_e32 v21, v23, v21
	s_cbranch_scc1 .LBB7_562
.LBB7_563:                              ;   in Loop: Header=BB7_517 Depth=1
	s_cbranch_execz .LBB7_565
	s_branch .LBB7_566
.LBB7_564:                              ;   in Loop: Header=BB7_517 Depth=1
.LBB7_565:                              ;   in Loop: Header=BB7_517 Depth=1
	global_load_dwordx2 v[20:21], v3, s[14:15]
.LBB7_566:                              ;   in Loop: Header=BB7_517 Depth=1
	v_readfirstlane_b32 s4, v29
	v_mov_b32_e32 v26, 0
	v_mov_b32_e32 v27, 0
	v_cmp_eq_u32_e64 s4, s4, v29
	s_and_saveexec_b32 s5, s4
	s_cbranch_execz .LBB7_572
; %bb.567:                              ;   in Loop: Header=BB7_517 Depth=1
	global_load_dwordx2 v[24:25], v3, s[6:7] offset:24 glc dlc
	s_waitcnt vmcnt(0)
	buffer_gl1_inv
	buffer_gl0_inv
	s_clause 0x1
	global_load_dwordx2 v[22:23], v3, s[6:7] offset:40
	global_load_dwordx2 v[26:27], v3, s[6:7]
	s_mov_b32 s14, exec_lo
	s_waitcnt vmcnt(1)
	v_and_b32_e32 v2, v23, v25
	v_and_b32_e32 v22, v22, v24
	v_mul_lo_u32 v2, v2, 24
	v_mul_hi_u32 v23, v22, 24
	v_mul_lo_u32 v22, v22, 24
	v_add_nc_u32_e32 v2, v23, v2
	s_waitcnt vmcnt(0)
	v_add_co_u32 v22, vcc_lo, v26, v22
	v_add_co_ci_u32_e64 v23, null, v27, v2, vcc_lo
	global_load_dwordx2 v[22:23], v[22:23], off glc dlc
	s_waitcnt vmcnt(0)
	global_atomic_cmpswap_x2 v[26:27], v3, v[22:25], s[6:7] offset:24 glc
	s_waitcnt vmcnt(0)
	buffer_gl1_inv
	buffer_gl0_inv
	v_cmpx_ne_u64_e64 v[26:27], v[24:25]
	s_cbranch_execz .LBB7_571
; %bb.568:                              ;   in Loop: Header=BB7_517 Depth=1
	s_mov_b32 s15, 0
	.p2align	6
.LBB7_569:                              ;   Parent Loop BB7_517 Depth=1
                                        ; =>  This Inner Loop Header: Depth=2
	s_sleep 1
	s_clause 0x1
	global_load_dwordx2 v[22:23], v3, s[6:7] offset:40
	global_load_dwordx2 v[30:31], v3, s[6:7]
	v_mov_b32_e32 v24, v26
	v_mov_b32_e32 v25, v27
	s_waitcnt vmcnt(1)
	v_and_b32_e32 v2, v22, v24
	v_and_b32_e32 v22, v23, v25
	s_waitcnt vmcnt(0)
	v_mad_u64_u32 v[26:27], null, v2, 24, v[30:31]
	v_mov_b32_e32 v2, v27
	v_mad_u64_u32 v[22:23], null, v22, 24, v[2:3]
	v_mov_b32_e32 v27, v22
	global_load_dwordx2 v[22:23], v[26:27], off glc dlc
	s_waitcnt vmcnt(0)
	global_atomic_cmpswap_x2 v[26:27], v3, v[22:25], s[6:7] offset:24 glc
	s_waitcnt vmcnt(0)
	buffer_gl1_inv
	buffer_gl0_inv
	v_cmp_eq_u64_e32 vcc_lo, v[26:27], v[24:25]
	s_or_b32 s15, vcc_lo, s15
	s_andn2_b32 exec_lo, exec_lo, s15
	s_cbranch_execnz .LBB7_569
; %bb.570:                              ;   in Loop: Header=BB7_517 Depth=1
	s_or_b32 exec_lo, exec_lo, s15
.LBB7_571:                              ;   in Loop: Header=BB7_517 Depth=1
	s_or_b32 exec_lo, exec_lo, s14
.LBB7_572:                              ;   in Loop: Header=BB7_517 Depth=1
	s_or_b32 exec_lo, exec_lo, s5
	s_clause 0x1
	global_load_dwordx2 v[30:31], v3, s[6:7] offset:40
	global_load_dwordx4 v[22:25], v3, s[6:7]
	v_readfirstlane_b32 s15, v27
	v_readfirstlane_b32 s14, v26
	s_mov_b32 s5, exec_lo
	s_waitcnt vmcnt(1)
	v_readfirstlane_b32 s16, v30
	v_readfirstlane_b32 s17, v31
	s_and_b64 s[16:17], s[16:17], s[14:15]
	s_mul_i32 s18, s17, 24
	s_mul_hi_u32 s19, s16, 24
	s_mul_i32 s20, s16, 24
	s_add_i32 s19, s19, s18
	s_waitcnt vmcnt(0)
	v_add_co_u32 v26, vcc_lo, v22, s20
	v_add_co_ci_u32_e64 v27, null, s19, v23, vcc_lo
	s_and_saveexec_b32 s18, s4
	s_cbranch_execz .LBB7_574
; %bb.573:                              ;   in Loop: Header=BB7_517 Depth=1
	v_mov_b32_e32 v2, s5
	global_store_dwordx4 v[26:27], v[2:5], off offset:8
.LBB7_574:                              ;   in Loop: Header=BB7_517 Depth=1
	s_or_b32 exec_lo, exec_lo, s18
	v_cmp_gt_u64_e64 s5, s[10:11], 56
	s_lshl_b64 s[16:17], s[16:17], 12
	v_and_b32_e32 v2, 0xffffff1f, v6
	v_add_co_u32 v24, vcc_lo, v24, s16
	v_add_co_ci_u32_e64 v25, null, s17, v25, vcc_lo
	s_and_b32 s5, s5, exec_lo
	s_cselect_b32 s5, 0, 2
	s_lshl_b32 s18, s12, 2
	v_or_b32_e32 v2, s5, v2
	v_readfirstlane_b32 s16, v24
	v_readfirstlane_b32 s17, v25
	s_add_i32 s18, s18, 28
	v_and_or_b32 v6, 0x1e0, s18, v2
	global_store_dwordx4 v28, v[10:13], s[16:17] offset:16
	global_store_dwordx4 v28, v[14:17], s[16:17] offset:32
	global_store_dwordx4 v28, v[6:9], s[16:17]
	global_store_dwordx4 v28, v[18:21], s[16:17] offset:48
	s_and_saveexec_b32 s5, s4
	s_cbranch_execz .LBB7_582
; %bb.575:                              ;   in Loop: Header=BB7_517 Depth=1
	s_clause 0x1
	global_load_dwordx2 v[14:15], v3, s[6:7] offset:32 glc dlc
	global_load_dwordx2 v[6:7], v3, s[6:7] offset:40
	v_mov_b32_e32 v12, s14
	v_mov_b32_e32 v13, s15
	s_waitcnt vmcnt(0)
	v_readfirstlane_b32 s16, v6
	v_readfirstlane_b32 s17, v7
	s_and_b64 s[16:17], s[16:17], s[14:15]
	s_mul_i32 s17, s17, 24
	s_mul_hi_u32 s18, s16, 24
	s_mul_i32 s16, s16, 24
	s_add_i32 s18, s18, s17
	v_add_co_u32 v10, vcc_lo, v22, s16
	v_add_co_ci_u32_e64 v11, null, s18, v23, vcc_lo
	s_mov_b32 s16, exec_lo
	global_store_dwordx2 v[10:11], v[14:15], off
	s_waitcnt_vscnt null, 0x0
	global_atomic_cmpswap_x2 v[8:9], v3, v[12:15], s[6:7] offset:32 glc
	s_waitcnt vmcnt(0)
	v_cmpx_ne_u64_e64 v[8:9], v[14:15]
	s_cbranch_execz .LBB7_578
; %bb.576:                              ;   in Loop: Header=BB7_517 Depth=1
	s_mov_b32 s17, 0
.LBB7_577:                              ;   Parent Loop BB7_517 Depth=1
                                        ; =>  This Inner Loop Header: Depth=2
	v_mov_b32_e32 v6, s14
	v_mov_b32_e32 v7, s15
	s_sleep 1
	global_store_dwordx2 v[10:11], v[8:9], off
	s_waitcnt_vscnt null, 0x0
	global_atomic_cmpswap_x2 v[6:7], v3, v[6:9], s[6:7] offset:32 glc
	s_waitcnt vmcnt(0)
	v_cmp_eq_u64_e32 vcc_lo, v[6:7], v[8:9]
	v_mov_b32_e32 v9, v7
	v_mov_b32_e32 v8, v6
	s_or_b32 s17, vcc_lo, s17
	s_andn2_b32 exec_lo, exec_lo, s17
	s_cbranch_execnz .LBB7_577
.LBB7_578:                              ;   in Loop: Header=BB7_517 Depth=1
	s_or_b32 exec_lo, exec_lo, s16
	global_load_dwordx2 v[6:7], v3, s[6:7] offset:16
	s_mov_b32 s17, exec_lo
	s_mov_b32 s16, exec_lo
	v_mbcnt_lo_u32_b32 v2, s17, 0
	v_cmpx_eq_u32_e32 0, v2
	s_cbranch_execz .LBB7_580
; %bb.579:                              ;   in Loop: Header=BB7_517 Depth=1
	s_bcnt1_i32_b32 s17, s17
	v_mov_b32_e32 v2, s17
	s_waitcnt vmcnt(0)
	global_atomic_add_x2 v[6:7], v[2:3], off offset:8
.LBB7_580:                              ;   in Loop: Header=BB7_517 Depth=1
	s_or_b32 exec_lo, exec_lo, s16
	s_waitcnt vmcnt(0)
	global_load_dwordx2 v[8:9], v[6:7], off offset:16
	s_waitcnt vmcnt(0)
	v_cmp_eq_u64_e32 vcc_lo, 0, v[8:9]
	s_cbranch_vccnz .LBB7_582
; %bb.581:                              ;   in Loop: Header=BB7_517 Depth=1
	global_load_dword v2, v[6:7], off offset:24
	s_waitcnt vmcnt(0)
	v_readfirstlane_b32 s16, v2
	s_waitcnt_vscnt null, 0x0
	global_store_dwordx2 v[8:9], v[2:3], off
	s_and_b32 m0, s16, 0x7fffff
	s_sendmsg sendmsg(MSG_INTERRUPT)
.LBB7_582:                              ;   in Loop: Header=BB7_517 Depth=1
	s_or_b32 exec_lo, exec_lo, s5
	v_add_co_u32 v6, vcc_lo, v24, v28
	v_add_co_ci_u32_e64 v7, null, 0, v25, vcc_lo
	s_branch .LBB7_586
	.p2align	6
.LBB7_583:                              ;   in Loop: Header=BB7_586 Depth=2
	s_or_b32 exec_lo, exec_lo, s5
	v_readfirstlane_b32 s5, v2
	s_cmp_eq_u32 s5, 0
	s_cbranch_scc1 .LBB7_585
; %bb.584:                              ;   in Loop: Header=BB7_586 Depth=2
	s_sleep 1
	s_cbranch_execnz .LBB7_586
	s_branch .LBB7_588
	.p2align	6
.LBB7_585:                              ;   in Loop: Header=BB7_517 Depth=1
	s_branch .LBB7_588
.LBB7_586:                              ;   Parent Loop BB7_517 Depth=1
                                        ; =>  This Inner Loop Header: Depth=2
	v_mov_b32_e32 v2, 1
	s_and_saveexec_b32 s5, s4
	s_cbranch_execz .LBB7_583
; %bb.587:                              ;   in Loop: Header=BB7_586 Depth=2
	global_load_dword v2, v[26:27], off offset:20 glc dlc
	s_waitcnt vmcnt(0)
	buffer_gl1_inv
	buffer_gl0_inv
	v_and_b32_e32 v2, 1, v2
	s_branch .LBB7_583
.LBB7_588:                              ;   in Loop: Header=BB7_517 Depth=1
	global_load_dwordx4 v[6:9], v[6:7], off
	s_and_saveexec_b32 s16, s4
	s_cbranch_execz .LBB7_516
; %bb.589:                              ;   in Loop: Header=BB7_517 Depth=1
	s_clause 0x2
	global_load_dwordx2 v[8:9], v3, s[6:7] offset:40
	global_load_dwordx2 v[16:17], v3, s[6:7] offset:24 glc dlc
	global_load_dwordx2 v[10:11], v3, s[6:7]
	s_waitcnt vmcnt(2)
	v_readfirstlane_b32 s18, v8
	v_readfirstlane_b32 s19, v9
	s_add_u32 s17, s18, 1
	s_addc_u32 s20, s19, 0
	s_add_u32 s4, s17, s14
	s_addc_u32 s5, s20, s15
	s_cmp_eq_u64 s[4:5], 0
	s_cselect_b32 s5, s20, s5
	s_cselect_b32 s4, s17, s4
	v_mov_b32_e32 v15, s5
	s_and_b64 s[14:15], s[4:5], s[18:19]
	v_mov_b32_e32 v14, s4
	s_mul_i32 s15, s15, 24
	s_mul_hi_u32 s17, s14, 24
	s_mul_i32 s14, s14, 24
	s_add_i32 s17, s17, s15
	s_waitcnt vmcnt(0)
	v_add_co_u32 v12, vcc_lo, v10, s14
	v_add_co_ci_u32_e64 v13, null, s17, v11, vcc_lo
	global_store_dwordx2 v[12:13], v[16:17], off
	s_waitcnt_vscnt null, 0x0
	global_atomic_cmpswap_x2 v[10:11], v3, v[14:17], s[6:7] offset:24 glc
	s_waitcnt vmcnt(0)
	v_cmp_ne_u64_e32 vcc_lo, v[10:11], v[16:17]
	s_and_b32 exec_lo, exec_lo, vcc_lo
	s_cbranch_execz .LBB7_516
; %bb.590:                              ;   in Loop: Header=BB7_517 Depth=1
	s_mov_b32 s14, 0
.LBB7_591:                              ;   Parent Loop BB7_517 Depth=1
                                        ; =>  This Inner Loop Header: Depth=2
	v_mov_b32_e32 v8, s4
	v_mov_b32_e32 v9, s5
	s_sleep 1
	global_store_dwordx2 v[12:13], v[10:11], off
	s_waitcnt_vscnt null, 0x0
	global_atomic_cmpswap_x2 v[8:9], v3, v[8:11], s[6:7] offset:24 glc
	s_waitcnt vmcnt(0)
	v_cmp_eq_u64_e32 vcc_lo, v[8:9], v[10:11]
	v_mov_b32_e32 v11, v9
	v_mov_b32_e32 v10, v8
	s_or_b32 s14, vcc_lo, s14
	s_andn2_b32 exec_lo, exec_lo, s14
	s_cbranch_execnz .LBB7_591
	s_branch .LBB7_516
.LBB7_592:
	global_load_dwordx2 v[0:1], v[10:11], off
	s_and_saveexec_b32 s10, s4
	s_cbranch_execz .LBB7_596
; %bb.593:
	v_mov_b32_e32 v8, 0
	s_clause 0x2
	global_load_dwordx2 v[2:3], v8, s[6:7] offset:40
	global_load_dwordx2 v[11:12], v8, s[6:7] offset:24 glc dlc
	global_load_dwordx2 v[4:5], v8, s[6:7]
	s_waitcnt vmcnt(2)
	v_readfirstlane_b32 s12, v2
	v_readfirstlane_b32 s13, v3
	s_add_u32 s11, s12, 1
	s_addc_u32 s14, s13, 0
	s_add_u32 s4, s11, s8
	s_addc_u32 s5, s14, s9
	s_cmp_eq_u64 s[4:5], 0
	s_cselect_b32 s5, s14, s5
	s_cselect_b32 s4, s11, s4
	v_mov_b32_e32 v10, s5
	s_and_b64 s[8:9], s[4:5], s[12:13]
	v_mov_b32_e32 v9, s4
	s_mul_i32 s9, s9, 24
	s_mul_hi_u32 s11, s8, 24
	s_mul_i32 s8, s8, 24
	s_add_i32 s11, s11, s9
	s_waitcnt vmcnt(0)
	v_add_co_u32 v6, vcc_lo, v4, s8
	v_add_co_ci_u32_e64 v7, null, s11, v5, vcc_lo
	global_store_dwordx2 v[6:7], v[11:12], off
	s_waitcnt_vscnt null, 0x0
	global_atomic_cmpswap_x2 v[4:5], v8, v[9:12], s[6:7] offset:24 glc
	s_waitcnt vmcnt(0)
	v_cmp_ne_u64_e32 vcc_lo, v[4:5], v[11:12]
	s_and_b32 exec_lo, exec_lo, vcc_lo
	s_cbranch_execz .LBB7_596
; %bb.594:
	s_mov_b32 s8, 0
.LBB7_595:                              ; =>This Inner Loop Header: Depth=1
	v_mov_b32_e32 v2, s4
	v_mov_b32_e32 v3, s5
	s_sleep 1
	global_store_dwordx2 v[6:7], v[4:5], off
	s_waitcnt_vscnt null, 0x0
	global_atomic_cmpswap_x2 v[2:3], v8, v[2:5], s[6:7] offset:24 glc
	s_waitcnt vmcnt(0)
	v_cmp_eq_u64_e32 vcc_lo, v[2:3], v[4:5]
	v_mov_b32_e32 v5, v3
	v_mov_b32_e32 v4, v2
	s_or_b32 s8, vcc_lo, s8
	s_andn2_b32 exec_lo, exec_lo, s8
	s_cbranch_execnz .LBB7_595
.LBB7_596:
	s_or_b32 exec_lo, exec_lo, s10
	s_getpc_b64 s[8:9]
	s_add_u32 s8, s8, .str.28@rel32@lo+4
	s_addc_u32 s9, s9, .str.28@rel32@hi+12
	s_cmp_lg_u64 s[8:9], 0
	s_cbranch_scc0 .LBB7_738
; %bb.597:
	s_waitcnt vmcnt(0)
	v_and_b32_e32 v6, -3, v0
	v_mov_b32_e32 v7, v1
	v_mov_b32_e32 v3, 0
	;; [unrolled: 1-line block ×4, first 2 shown]
	s_mov_b64 s[10:11], 35
	s_branch .LBB7_599
.LBB7_598:                              ;   in Loop: Header=BB7_599 Depth=1
	s_or_b32 exec_lo, exec_lo, s16
	s_sub_u32 s10, s10, s12
	s_subb_u32 s11, s11, s13
	s_add_u32 s8, s8, s12
	s_addc_u32 s9, s9, s13
	s_cmp_lg_u64 s[10:11], 0
	s_cbranch_scc0 .LBB7_676
.LBB7_599:                              ; =>This Loop Header: Depth=1
                                        ;     Child Loop BB7_602 Depth 2
                                        ;     Child Loop BB7_609 Depth 2
	;; [unrolled: 1-line block ×11, first 2 shown]
	v_cmp_lt_u64_e64 s4, s[10:11], 56
	v_cmp_gt_u64_e64 s14, s[10:11], 7
	s_and_b32 s4, s4, exec_lo
	s_cselect_b32 s13, s11, 0
	s_cselect_b32 s12, s10, 56
	s_add_u32 s4, s8, 8
	s_addc_u32 s5, s9, 0
	s_and_b32 vcc_lo, exec_lo, s14
	s_cbranch_vccnz .LBB7_604
; %bb.600:                              ;   in Loop: Header=BB7_599 Depth=1
	s_waitcnt vmcnt(0)
	v_mov_b32_e32 v8, 0
	v_mov_b32_e32 v9, 0
	s_cmp_eq_u64 s[10:11], 0
	s_cbranch_scc1 .LBB7_603
; %bb.601:                              ;   in Loop: Header=BB7_599 Depth=1
	s_lshl_b64 s[4:5], s[12:13], 3
	s_mov_b64 s[14:15], 0
	s_mov_b64 s[16:17], s[8:9]
.LBB7_602:                              ;   Parent Loop BB7_599 Depth=1
                                        ; =>  This Inner Loop Header: Depth=2
	global_load_ubyte v2, v3, s[16:17]
	s_waitcnt vmcnt(0)
	v_and_b32_e32 v2, 0xffff, v2
	v_lshlrev_b64 v[10:11], s14, v[2:3]
	s_add_u32 s14, s14, 8
	s_addc_u32 s15, s15, 0
	s_add_u32 s16, s16, 1
	s_addc_u32 s17, s17, 0
	s_cmp_lg_u32 s4, s14
	v_or_b32_e32 v8, v10, v8
	v_or_b32_e32 v9, v11, v9
	s_cbranch_scc1 .LBB7_602
.LBB7_603:                              ;   in Loop: Header=BB7_599 Depth=1
	s_mov_b64 s[4:5], s[8:9]
	s_mov_b32 s18, 0
	s_cbranch_execz .LBB7_605
	s_branch .LBB7_606
.LBB7_604:                              ;   in Loop: Header=BB7_599 Depth=1
	s_mov_b32 s18, 0
.LBB7_605:                              ;   in Loop: Header=BB7_599 Depth=1
	global_load_dwordx2 v[8:9], v3, s[8:9]
	s_add_i32 s18, s12, -8
.LBB7_606:                              ;   in Loop: Header=BB7_599 Depth=1
	s_add_u32 s14, s4, 8
	s_addc_u32 s15, s5, 0
	s_cmp_gt_u32 s18, 7
	s_cbranch_scc1 .LBB7_611
; %bb.607:                              ;   in Loop: Header=BB7_599 Depth=1
	v_mov_b32_e32 v10, 0
	v_mov_b32_e32 v11, 0
	s_cmp_eq_u32 s18, 0
	s_cbranch_scc1 .LBB7_610
; %bb.608:                              ;   in Loop: Header=BB7_599 Depth=1
	s_mov_b64 s[14:15], 0
	s_mov_b64 s[16:17], 0
.LBB7_609:                              ;   Parent Loop BB7_599 Depth=1
                                        ; =>  This Inner Loop Header: Depth=2
	s_add_u32 s30, s4, s16
	s_addc_u32 s31, s5, s17
	s_add_u32 s16, s16, 1
	global_load_ubyte v2, v3, s[30:31]
	s_addc_u32 s17, s17, 0
	s_waitcnt vmcnt(0)
	v_and_b32_e32 v2, 0xffff, v2
	v_lshlrev_b64 v[12:13], s14, v[2:3]
	s_add_u32 s14, s14, 8
	s_addc_u32 s15, s15, 0
	s_cmp_lg_u32 s18, s16
	v_or_b32_e32 v10, v12, v10
	v_or_b32_e32 v11, v13, v11
	s_cbranch_scc1 .LBB7_609
.LBB7_610:                              ;   in Loop: Header=BB7_599 Depth=1
	s_mov_b64 s[14:15], s[4:5]
	s_mov_b32 s19, 0
	s_cbranch_execz .LBB7_612
	s_branch .LBB7_613
.LBB7_611:                              ;   in Loop: Header=BB7_599 Depth=1
                                        ; implicit-def: $vgpr10_vgpr11
	s_mov_b32 s19, 0
.LBB7_612:                              ;   in Loop: Header=BB7_599 Depth=1
	global_load_dwordx2 v[10:11], v3, s[4:5]
	s_add_i32 s19, s18, -8
.LBB7_613:                              ;   in Loop: Header=BB7_599 Depth=1
	s_add_u32 s4, s14, 8
	s_addc_u32 s5, s15, 0
	s_cmp_gt_u32 s19, 7
	s_cbranch_scc1 .LBB7_618
; %bb.614:                              ;   in Loop: Header=BB7_599 Depth=1
	v_mov_b32_e32 v12, 0
	v_mov_b32_e32 v13, 0
	s_cmp_eq_u32 s19, 0
	s_cbranch_scc1 .LBB7_617
; %bb.615:                              ;   in Loop: Header=BB7_599 Depth=1
	s_mov_b64 s[4:5], 0
	s_mov_b64 s[16:17], 0
.LBB7_616:                              ;   Parent Loop BB7_599 Depth=1
                                        ; =>  This Inner Loop Header: Depth=2
	s_add_u32 s30, s14, s16
	s_addc_u32 s31, s15, s17
	s_add_u32 s16, s16, 1
	global_load_ubyte v2, v3, s[30:31]
	s_addc_u32 s17, s17, 0
	s_waitcnt vmcnt(0)
	v_and_b32_e32 v2, 0xffff, v2
	v_lshlrev_b64 v[14:15], s4, v[2:3]
	s_add_u32 s4, s4, 8
	s_addc_u32 s5, s5, 0
	s_cmp_lg_u32 s19, s16
	v_or_b32_e32 v12, v14, v12
	v_or_b32_e32 v13, v15, v13
	s_cbranch_scc1 .LBB7_616
.LBB7_617:                              ;   in Loop: Header=BB7_599 Depth=1
	s_mov_b64 s[4:5], s[14:15]
	s_mov_b32 s18, 0
	s_cbranch_execz .LBB7_619
	s_branch .LBB7_620
.LBB7_618:                              ;   in Loop: Header=BB7_599 Depth=1
	s_mov_b32 s18, 0
.LBB7_619:                              ;   in Loop: Header=BB7_599 Depth=1
	global_load_dwordx2 v[12:13], v3, s[14:15]
	s_add_i32 s18, s19, -8
.LBB7_620:                              ;   in Loop: Header=BB7_599 Depth=1
	s_add_u32 s14, s4, 8
	s_addc_u32 s15, s5, 0
	s_cmp_gt_u32 s18, 7
	s_cbranch_scc1 .LBB7_625
; %bb.621:                              ;   in Loop: Header=BB7_599 Depth=1
	v_mov_b32_e32 v14, 0
	v_mov_b32_e32 v15, 0
	s_cmp_eq_u32 s18, 0
	s_cbranch_scc1 .LBB7_624
; %bb.622:                              ;   in Loop: Header=BB7_599 Depth=1
	s_mov_b64 s[14:15], 0
	s_mov_b64 s[16:17], 0
.LBB7_623:                              ;   Parent Loop BB7_599 Depth=1
                                        ; =>  This Inner Loop Header: Depth=2
	s_add_u32 s30, s4, s16
	s_addc_u32 s31, s5, s17
	s_add_u32 s16, s16, 1
	global_load_ubyte v2, v3, s[30:31]
	s_addc_u32 s17, s17, 0
	s_waitcnt vmcnt(0)
	v_and_b32_e32 v2, 0xffff, v2
	v_lshlrev_b64 v[16:17], s14, v[2:3]
	s_add_u32 s14, s14, 8
	s_addc_u32 s15, s15, 0
	s_cmp_lg_u32 s18, s16
	v_or_b32_e32 v14, v16, v14
	v_or_b32_e32 v15, v17, v15
	s_cbranch_scc1 .LBB7_623
.LBB7_624:                              ;   in Loop: Header=BB7_599 Depth=1
	s_mov_b64 s[14:15], s[4:5]
	s_mov_b32 s19, 0
	s_cbranch_execz .LBB7_626
	s_branch .LBB7_627
.LBB7_625:                              ;   in Loop: Header=BB7_599 Depth=1
                                        ; implicit-def: $vgpr14_vgpr15
	s_mov_b32 s19, 0
.LBB7_626:                              ;   in Loop: Header=BB7_599 Depth=1
	global_load_dwordx2 v[14:15], v3, s[4:5]
	s_add_i32 s19, s18, -8
.LBB7_627:                              ;   in Loop: Header=BB7_599 Depth=1
	s_add_u32 s4, s14, 8
	s_addc_u32 s5, s15, 0
	s_cmp_gt_u32 s19, 7
	s_cbranch_scc1 .LBB7_632
; %bb.628:                              ;   in Loop: Header=BB7_599 Depth=1
	v_mov_b32_e32 v16, 0
	v_mov_b32_e32 v17, 0
	s_cmp_eq_u32 s19, 0
	s_cbranch_scc1 .LBB7_631
; %bb.629:                              ;   in Loop: Header=BB7_599 Depth=1
	s_mov_b64 s[4:5], 0
	s_mov_b64 s[16:17], 0
.LBB7_630:                              ;   Parent Loop BB7_599 Depth=1
                                        ; =>  This Inner Loop Header: Depth=2
	s_add_u32 s30, s14, s16
	s_addc_u32 s31, s15, s17
	s_add_u32 s16, s16, 1
	global_load_ubyte v2, v3, s[30:31]
	s_addc_u32 s17, s17, 0
	s_waitcnt vmcnt(0)
	v_and_b32_e32 v2, 0xffff, v2
	v_lshlrev_b64 v[18:19], s4, v[2:3]
	s_add_u32 s4, s4, 8
	s_addc_u32 s5, s5, 0
	s_cmp_lg_u32 s19, s16
	v_or_b32_e32 v16, v18, v16
	v_or_b32_e32 v17, v19, v17
	s_cbranch_scc1 .LBB7_630
.LBB7_631:                              ;   in Loop: Header=BB7_599 Depth=1
	s_mov_b64 s[4:5], s[14:15]
	s_mov_b32 s18, 0
	s_cbranch_execz .LBB7_633
	s_branch .LBB7_634
.LBB7_632:                              ;   in Loop: Header=BB7_599 Depth=1
	s_mov_b32 s18, 0
.LBB7_633:                              ;   in Loop: Header=BB7_599 Depth=1
	global_load_dwordx2 v[16:17], v3, s[14:15]
	s_add_i32 s18, s19, -8
.LBB7_634:                              ;   in Loop: Header=BB7_599 Depth=1
	s_add_u32 s14, s4, 8
	s_addc_u32 s15, s5, 0
	s_cmp_gt_u32 s18, 7
	s_cbranch_scc1 .LBB7_639
; %bb.635:                              ;   in Loop: Header=BB7_599 Depth=1
	v_mov_b32_e32 v18, 0
	v_mov_b32_e32 v19, 0
	s_cmp_eq_u32 s18, 0
	s_cbranch_scc1 .LBB7_638
; %bb.636:                              ;   in Loop: Header=BB7_599 Depth=1
	s_mov_b64 s[14:15], 0
	s_mov_b64 s[16:17], 0
.LBB7_637:                              ;   Parent Loop BB7_599 Depth=1
                                        ; =>  This Inner Loop Header: Depth=2
	s_add_u32 s30, s4, s16
	s_addc_u32 s31, s5, s17
	s_add_u32 s16, s16, 1
	global_load_ubyte v2, v3, s[30:31]
	s_addc_u32 s17, s17, 0
	s_waitcnt vmcnt(0)
	v_and_b32_e32 v2, 0xffff, v2
	v_lshlrev_b64 v[20:21], s14, v[2:3]
	s_add_u32 s14, s14, 8
	s_addc_u32 s15, s15, 0
	s_cmp_lg_u32 s18, s16
	v_or_b32_e32 v18, v20, v18
	v_or_b32_e32 v19, v21, v19
	s_cbranch_scc1 .LBB7_637
.LBB7_638:                              ;   in Loop: Header=BB7_599 Depth=1
	s_mov_b64 s[14:15], s[4:5]
	s_mov_b32 s19, 0
	s_cbranch_execz .LBB7_640
	s_branch .LBB7_641
.LBB7_639:                              ;   in Loop: Header=BB7_599 Depth=1
                                        ; implicit-def: $vgpr18_vgpr19
	s_mov_b32 s19, 0
.LBB7_640:                              ;   in Loop: Header=BB7_599 Depth=1
	global_load_dwordx2 v[18:19], v3, s[4:5]
	s_add_i32 s19, s18, -8
.LBB7_641:                              ;   in Loop: Header=BB7_599 Depth=1
	s_cmp_gt_u32 s19, 7
	s_cbranch_scc1 .LBB7_646
; %bb.642:                              ;   in Loop: Header=BB7_599 Depth=1
	v_mov_b32_e32 v20, 0
	v_mov_b32_e32 v21, 0
	s_cmp_eq_u32 s19, 0
	s_cbranch_scc1 .LBB7_645
; %bb.643:                              ;   in Loop: Header=BB7_599 Depth=1
	s_mov_b64 s[4:5], 0
	s_mov_b64 s[16:17], s[14:15]
.LBB7_644:                              ;   Parent Loop BB7_599 Depth=1
                                        ; =>  This Inner Loop Header: Depth=2
	global_load_ubyte v2, v3, s[16:17]
	s_add_i32 s19, s19, -1
	s_waitcnt vmcnt(0)
	v_and_b32_e32 v2, 0xffff, v2
	v_lshlrev_b64 v[22:23], s4, v[2:3]
	s_add_u32 s4, s4, 8
	s_addc_u32 s5, s5, 0
	s_add_u32 s16, s16, 1
	s_addc_u32 s17, s17, 0
	s_cmp_lg_u32 s19, 0
	v_or_b32_e32 v20, v22, v20
	v_or_b32_e32 v21, v23, v21
	s_cbranch_scc1 .LBB7_644
.LBB7_645:                              ;   in Loop: Header=BB7_599 Depth=1
	s_cbranch_execz .LBB7_647
	s_branch .LBB7_648
.LBB7_646:                              ;   in Loop: Header=BB7_599 Depth=1
.LBB7_647:                              ;   in Loop: Header=BB7_599 Depth=1
	global_load_dwordx2 v[20:21], v3, s[14:15]
.LBB7_648:                              ;   in Loop: Header=BB7_599 Depth=1
	v_readfirstlane_b32 s4, v29
	v_mov_b32_e32 v26, 0
	v_mov_b32_e32 v27, 0
	v_cmp_eq_u32_e64 s4, s4, v29
	s_and_saveexec_b32 s5, s4
	s_cbranch_execz .LBB7_654
; %bb.649:                              ;   in Loop: Header=BB7_599 Depth=1
	global_load_dwordx2 v[24:25], v3, s[6:7] offset:24 glc dlc
	s_waitcnt vmcnt(0)
	buffer_gl1_inv
	buffer_gl0_inv
	s_clause 0x1
	global_load_dwordx2 v[22:23], v3, s[6:7] offset:40
	global_load_dwordx2 v[26:27], v3, s[6:7]
	s_mov_b32 s14, exec_lo
	s_waitcnt vmcnt(1)
	v_and_b32_e32 v2, v23, v25
	v_and_b32_e32 v22, v22, v24
	v_mul_lo_u32 v2, v2, 24
	v_mul_hi_u32 v23, v22, 24
	v_mul_lo_u32 v22, v22, 24
	v_add_nc_u32_e32 v2, v23, v2
	s_waitcnt vmcnt(0)
	v_add_co_u32 v22, vcc_lo, v26, v22
	v_add_co_ci_u32_e64 v23, null, v27, v2, vcc_lo
	global_load_dwordx2 v[22:23], v[22:23], off glc dlc
	s_waitcnt vmcnt(0)
	global_atomic_cmpswap_x2 v[26:27], v3, v[22:25], s[6:7] offset:24 glc
	s_waitcnt vmcnt(0)
	buffer_gl1_inv
	buffer_gl0_inv
	v_cmpx_ne_u64_e64 v[26:27], v[24:25]
	s_cbranch_execz .LBB7_653
; %bb.650:                              ;   in Loop: Header=BB7_599 Depth=1
	s_mov_b32 s15, 0
	.p2align	6
.LBB7_651:                              ;   Parent Loop BB7_599 Depth=1
                                        ; =>  This Inner Loop Header: Depth=2
	s_sleep 1
	s_clause 0x1
	global_load_dwordx2 v[22:23], v3, s[6:7] offset:40
	global_load_dwordx2 v[30:31], v3, s[6:7]
	v_mov_b32_e32 v24, v26
	v_mov_b32_e32 v25, v27
	s_waitcnt vmcnt(1)
	v_and_b32_e32 v2, v22, v24
	v_and_b32_e32 v22, v23, v25
	s_waitcnt vmcnt(0)
	v_mad_u64_u32 v[26:27], null, v2, 24, v[30:31]
	v_mov_b32_e32 v2, v27
	v_mad_u64_u32 v[22:23], null, v22, 24, v[2:3]
	v_mov_b32_e32 v27, v22
	global_load_dwordx2 v[22:23], v[26:27], off glc dlc
	s_waitcnt vmcnt(0)
	global_atomic_cmpswap_x2 v[26:27], v3, v[22:25], s[6:7] offset:24 glc
	s_waitcnt vmcnt(0)
	buffer_gl1_inv
	buffer_gl0_inv
	v_cmp_eq_u64_e32 vcc_lo, v[26:27], v[24:25]
	s_or_b32 s15, vcc_lo, s15
	s_andn2_b32 exec_lo, exec_lo, s15
	s_cbranch_execnz .LBB7_651
; %bb.652:                              ;   in Loop: Header=BB7_599 Depth=1
	s_or_b32 exec_lo, exec_lo, s15
.LBB7_653:                              ;   in Loop: Header=BB7_599 Depth=1
	s_or_b32 exec_lo, exec_lo, s14
.LBB7_654:                              ;   in Loop: Header=BB7_599 Depth=1
	s_or_b32 exec_lo, exec_lo, s5
	s_clause 0x1
	global_load_dwordx2 v[30:31], v3, s[6:7] offset:40
	global_load_dwordx4 v[22:25], v3, s[6:7]
	v_readfirstlane_b32 s15, v27
	v_readfirstlane_b32 s14, v26
	s_mov_b32 s5, exec_lo
	s_waitcnt vmcnt(1)
	v_readfirstlane_b32 s16, v30
	v_readfirstlane_b32 s17, v31
	s_and_b64 s[16:17], s[16:17], s[14:15]
	s_mul_i32 s18, s17, 24
	s_mul_hi_u32 s19, s16, 24
	s_mul_i32 s20, s16, 24
	s_add_i32 s19, s19, s18
	s_waitcnt vmcnt(0)
	v_add_co_u32 v26, vcc_lo, v22, s20
	v_add_co_ci_u32_e64 v27, null, s19, v23, vcc_lo
	s_and_saveexec_b32 s18, s4
	s_cbranch_execz .LBB7_656
; %bb.655:                              ;   in Loop: Header=BB7_599 Depth=1
	v_mov_b32_e32 v2, s5
	global_store_dwordx4 v[26:27], v[2:5], off offset:8
.LBB7_656:                              ;   in Loop: Header=BB7_599 Depth=1
	s_or_b32 exec_lo, exec_lo, s18
	v_cmp_gt_u64_e64 s5, s[10:11], 56
	s_lshl_b64 s[16:17], s[16:17], 12
	v_and_b32_e32 v2, 0xffffff1f, v6
	v_add_co_u32 v24, vcc_lo, v24, s16
	v_add_co_ci_u32_e64 v25, null, s17, v25, vcc_lo
	s_and_b32 s5, s5, exec_lo
	s_cselect_b32 s5, 0, 2
	s_lshl_b32 s18, s12, 2
	v_or_b32_e32 v2, s5, v2
	v_readfirstlane_b32 s16, v24
	v_readfirstlane_b32 s17, v25
	s_add_i32 s18, s18, 28
	v_and_or_b32 v6, 0x1e0, s18, v2
	global_store_dwordx4 v28, v[10:13], s[16:17] offset:16
	global_store_dwordx4 v28, v[14:17], s[16:17] offset:32
	global_store_dwordx4 v28, v[6:9], s[16:17]
	global_store_dwordx4 v28, v[18:21], s[16:17] offset:48
	s_and_saveexec_b32 s5, s4
	s_cbranch_execz .LBB7_664
; %bb.657:                              ;   in Loop: Header=BB7_599 Depth=1
	s_clause 0x1
	global_load_dwordx2 v[14:15], v3, s[6:7] offset:32 glc dlc
	global_load_dwordx2 v[6:7], v3, s[6:7] offset:40
	v_mov_b32_e32 v12, s14
	v_mov_b32_e32 v13, s15
	s_waitcnt vmcnt(0)
	v_readfirstlane_b32 s16, v6
	v_readfirstlane_b32 s17, v7
	s_and_b64 s[16:17], s[16:17], s[14:15]
	s_mul_i32 s17, s17, 24
	s_mul_hi_u32 s18, s16, 24
	s_mul_i32 s16, s16, 24
	s_add_i32 s18, s18, s17
	v_add_co_u32 v10, vcc_lo, v22, s16
	v_add_co_ci_u32_e64 v11, null, s18, v23, vcc_lo
	s_mov_b32 s16, exec_lo
	global_store_dwordx2 v[10:11], v[14:15], off
	s_waitcnt_vscnt null, 0x0
	global_atomic_cmpswap_x2 v[8:9], v3, v[12:15], s[6:7] offset:32 glc
	s_waitcnt vmcnt(0)
	v_cmpx_ne_u64_e64 v[8:9], v[14:15]
	s_cbranch_execz .LBB7_660
; %bb.658:                              ;   in Loop: Header=BB7_599 Depth=1
	s_mov_b32 s17, 0
.LBB7_659:                              ;   Parent Loop BB7_599 Depth=1
                                        ; =>  This Inner Loop Header: Depth=2
	v_mov_b32_e32 v6, s14
	v_mov_b32_e32 v7, s15
	s_sleep 1
	global_store_dwordx2 v[10:11], v[8:9], off
	s_waitcnt_vscnt null, 0x0
	global_atomic_cmpswap_x2 v[6:7], v3, v[6:9], s[6:7] offset:32 glc
	s_waitcnt vmcnt(0)
	v_cmp_eq_u64_e32 vcc_lo, v[6:7], v[8:9]
	v_mov_b32_e32 v9, v7
	v_mov_b32_e32 v8, v6
	s_or_b32 s17, vcc_lo, s17
	s_andn2_b32 exec_lo, exec_lo, s17
	s_cbranch_execnz .LBB7_659
.LBB7_660:                              ;   in Loop: Header=BB7_599 Depth=1
	s_or_b32 exec_lo, exec_lo, s16
	global_load_dwordx2 v[6:7], v3, s[6:7] offset:16
	s_mov_b32 s17, exec_lo
	s_mov_b32 s16, exec_lo
	v_mbcnt_lo_u32_b32 v2, s17, 0
	v_cmpx_eq_u32_e32 0, v2
	s_cbranch_execz .LBB7_662
; %bb.661:                              ;   in Loop: Header=BB7_599 Depth=1
	s_bcnt1_i32_b32 s17, s17
	v_mov_b32_e32 v2, s17
	s_waitcnt vmcnt(0)
	global_atomic_add_x2 v[6:7], v[2:3], off offset:8
.LBB7_662:                              ;   in Loop: Header=BB7_599 Depth=1
	s_or_b32 exec_lo, exec_lo, s16
	s_waitcnt vmcnt(0)
	global_load_dwordx2 v[8:9], v[6:7], off offset:16
	s_waitcnt vmcnt(0)
	v_cmp_eq_u64_e32 vcc_lo, 0, v[8:9]
	s_cbranch_vccnz .LBB7_664
; %bb.663:                              ;   in Loop: Header=BB7_599 Depth=1
	global_load_dword v2, v[6:7], off offset:24
	s_waitcnt vmcnt(0)
	v_readfirstlane_b32 s16, v2
	s_waitcnt_vscnt null, 0x0
	global_store_dwordx2 v[8:9], v[2:3], off
	s_and_b32 m0, s16, 0x7fffff
	s_sendmsg sendmsg(MSG_INTERRUPT)
.LBB7_664:                              ;   in Loop: Header=BB7_599 Depth=1
	s_or_b32 exec_lo, exec_lo, s5
	v_add_co_u32 v6, vcc_lo, v24, v28
	v_add_co_ci_u32_e64 v7, null, 0, v25, vcc_lo
	s_branch .LBB7_668
	.p2align	6
.LBB7_665:                              ;   in Loop: Header=BB7_668 Depth=2
	s_or_b32 exec_lo, exec_lo, s5
	v_readfirstlane_b32 s5, v2
	s_cmp_eq_u32 s5, 0
	s_cbranch_scc1 .LBB7_667
; %bb.666:                              ;   in Loop: Header=BB7_668 Depth=2
	s_sleep 1
	s_cbranch_execnz .LBB7_668
	s_branch .LBB7_670
	.p2align	6
.LBB7_667:                              ;   in Loop: Header=BB7_599 Depth=1
	s_branch .LBB7_670
.LBB7_668:                              ;   Parent Loop BB7_599 Depth=1
                                        ; =>  This Inner Loop Header: Depth=2
	v_mov_b32_e32 v2, 1
	s_and_saveexec_b32 s5, s4
	s_cbranch_execz .LBB7_665
; %bb.669:                              ;   in Loop: Header=BB7_668 Depth=2
	global_load_dword v2, v[26:27], off offset:20 glc dlc
	s_waitcnt vmcnt(0)
	buffer_gl1_inv
	buffer_gl0_inv
	v_and_b32_e32 v2, 1, v2
	s_branch .LBB7_665
.LBB7_670:                              ;   in Loop: Header=BB7_599 Depth=1
	global_load_dwordx4 v[6:9], v[6:7], off
	s_and_saveexec_b32 s16, s4
	s_cbranch_execz .LBB7_598
; %bb.671:                              ;   in Loop: Header=BB7_599 Depth=1
	s_clause 0x2
	global_load_dwordx2 v[8:9], v3, s[6:7] offset:40
	global_load_dwordx2 v[16:17], v3, s[6:7] offset:24 glc dlc
	global_load_dwordx2 v[10:11], v3, s[6:7]
	s_waitcnt vmcnt(2)
	v_readfirstlane_b32 s18, v8
	v_readfirstlane_b32 s19, v9
	s_add_u32 s17, s18, 1
	s_addc_u32 s20, s19, 0
	s_add_u32 s4, s17, s14
	s_addc_u32 s5, s20, s15
	s_cmp_eq_u64 s[4:5], 0
	s_cselect_b32 s5, s20, s5
	s_cselect_b32 s4, s17, s4
	v_mov_b32_e32 v15, s5
	s_and_b64 s[14:15], s[4:5], s[18:19]
	v_mov_b32_e32 v14, s4
	s_mul_i32 s15, s15, 24
	s_mul_hi_u32 s17, s14, 24
	s_mul_i32 s14, s14, 24
	s_add_i32 s17, s17, s15
	s_waitcnt vmcnt(0)
	v_add_co_u32 v12, vcc_lo, v10, s14
	v_add_co_ci_u32_e64 v13, null, s17, v11, vcc_lo
	global_store_dwordx2 v[12:13], v[16:17], off
	s_waitcnt_vscnt null, 0x0
	global_atomic_cmpswap_x2 v[10:11], v3, v[14:17], s[6:7] offset:24 glc
	s_waitcnt vmcnt(0)
	v_cmp_ne_u64_e32 vcc_lo, v[10:11], v[16:17]
	s_and_b32 exec_lo, exec_lo, vcc_lo
	s_cbranch_execz .LBB7_598
; %bb.672:                              ;   in Loop: Header=BB7_599 Depth=1
	s_mov_b32 s14, 0
.LBB7_673:                              ;   Parent Loop BB7_599 Depth=1
                                        ; =>  This Inner Loop Header: Depth=2
	v_mov_b32_e32 v8, s4
	v_mov_b32_e32 v9, s5
	s_sleep 1
	global_store_dwordx2 v[12:13], v[10:11], off
	s_waitcnt_vscnt null, 0x0
	global_atomic_cmpswap_x2 v[8:9], v3, v[8:11], s[6:7] offset:24 glc
	s_waitcnt vmcnt(0)
	v_cmp_eq_u64_e32 vcc_lo, v[8:9], v[10:11]
	v_mov_b32_e32 v11, v9
	v_mov_b32_e32 v10, v8
	s_or_b32 s14, vcc_lo, s14
	s_andn2_b32 exec_lo, exec_lo, s14
	s_cbranch_execnz .LBB7_673
	s_branch .LBB7_598
.LBB7_674:
	s_branch .LBB7_705
.LBB7_675:
	s_branch .LBB7_736
.LBB7_676:
	s_branch .LBB7_766
.LBB7_677:
	s_cbranch_execz .LBB7_705
; %bb.678:
	v_readfirstlane_b32 s4, v29
	s_waitcnt vmcnt(0)
	v_mov_b32_e32 v8, 0
	v_mov_b32_e32 v9, 0
	v_cmp_eq_u32_e64 s4, s4, v29
	s_and_saveexec_b32 s5, s4
	s_cbranch_execz .LBB7_684
; %bb.679:
	v_mov_b32_e32 v2, 0
	s_mov_b32 s8, exec_lo
	global_load_dwordx2 v[5:6], v2, s[6:7] offset:24 glc dlc
	s_waitcnt vmcnt(0)
	buffer_gl1_inv
	buffer_gl0_inv
	s_clause 0x1
	global_load_dwordx2 v[3:4], v2, s[6:7] offset:40
	global_load_dwordx2 v[7:8], v2, s[6:7]
	s_waitcnt vmcnt(1)
	v_and_b32_e32 v4, v4, v6
	v_and_b32_e32 v3, v3, v5
	v_mul_lo_u32 v4, v4, 24
	v_mul_hi_u32 v9, v3, 24
	v_mul_lo_u32 v3, v3, 24
	v_add_nc_u32_e32 v4, v9, v4
	s_waitcnt vmcnt(0)
	v_add_co_u32 v3, vcc_lo, v7, v3
	v_add_co_ci_u32_e64 v4, null, v8, v4, vcc_lo
	global_load_dwordx2 v[3:4], v[3:4], off glc dlc
	s_waitcnt vmcnt(0)
	global_atomic_cmpswap_x2 v[8:9], v2, v[3:6], s[6:7] offset:24 glc
	s_waitcnt vmcnt(0)
	buffer_gl1_inv
	buffer_gl0_inv
	v_cmpx_ne_u64_e64 v[8:9], v[5:6]
	s_cbranch_execz .LBB7_683
; %bb.680:
	s_mov_b32 s9, 0
	.p2align	6
.LBB7_681:                              ; =>This Inner Loop Header: Depth=1
	s_sleep 1
	s_clause 0x1
	global_load_dwordx2 v[3:4], v2, s[6:7] offset:40
	global_load_dwordx2 v[10:11], v2, s[6:7]
	v_mov_b32_e32 v5, v8
	v_mov_b32_e32 v6, v9
	s_waitcnt vmcnt(1)
	v_and_b32_e32 v3, v3, v5
	v_and_b32_e32 v4, v4, v6
	s_waitcnt vmcnt(0)
	v_mad_u64_u32 v[7:8], null, v3, 24, v[10:11]
	v_mov_b32_e32 v3, v8
	v_mad_u64_u32 v[3:4], null, v4, 24, v[3:4]
	v_mov_b32_e32 v8, v3
	global_load_dwordx2 v[3:4], v[7:8], off glc dlc
	s_waitcnt vmcnt(0)
	global_atomic_cmpswap_x2 v[8:9], v2, v[3:6], s[6:7] offset:24 glc
	s_waitcnt vmcnt(0)
	buffer_gl1_inv
	buffer_gl0_inv
	v_cmp_eq_u64_e32 vcc_lo, v[8:9], v[5:6]
	s_or_b32 s9, vcc_lo, s9
	s_andn2_b32 exec_lo, exec_lo, s9
	s_cbranch_execnz .LBB7_681
; %bb.682:
	s_or_b32 exec_lo, exec_lo, s9
.LBB7_683:
	s_or_b32 exec_lo, exec_lo, s8
.LBB7_684:
	s_or_b32 exec_lo, exec_lo, s5
	v_mov_b32_e32 v2, 0
	v_readfirstlane_b32 s9, v9
	v_readfirstlane_b32 s8, v8
	s_mov_b32 s5, exec_lo
	s_clause 0x1
	global_load_dwordx2 v[10:11], v2, s[6:7] offset:40
	global_load_dwordx4 v[4:7], v2, s[6:7]
	s_waitcnt vmcnt(1)
	v_readfirstlane_b32 s10, v10
	v_readfirstlane_b32 s11, v11
	s_and_b64 s[10:11], s[10:11], s[8:9]
	s_mul_i32 s12, s11, 24
	s_mul_hi_u32 s13, s10, 24
	s_mul_i32 s14, s10, 24
	s_add_i32 s13, s13, s12
	s_waitcnt vmcnt(0)
	v_add_co_u32 v8, vcc_lo, v4, s14
	v_add_co_ci_u32_e64 v9, null, s13, v5, vcc_lo
	s_and_saveexec_b32 s12, s4
	s_cbranch_execz .LBB7_686
; %bb.685:
	v_mov_b32_e32 v10, s5
	v_mov_b32_e32 v11, v2
	v_mov_b32_e32 v12, 2
	v_mov_b32_e32 v13, 1
	global_store_dwordx4 v[8:9], v[10:13], off offset:8
.LBB7_686:
	s_or_b32 exec_lo, exec_lo, s12
	s_lshl_b64 s[10:11], s[10:11], 12
	s_mov_b32 s12, 0
	v_add_co_u32 v6, vcc_lo, v6, s10
	v_add_co_ci_u32_e64 v7, null, s11, v7, vcc_lo
	s_mov_b32 s13, s12
	s_mov_b32 s14, s12
	;; [unrolled: 1-line block ×3, first 2 shown]
	v_and_or_b32 v0, 0xffffff1d, v0, 34
	v_mov_b32_e32 v3, v2
	v_readfirstlane_b32 s10, v6
	v_readfirstlane_b32 s11, v7
	v_mov_b32_e32 v10, s12
	v_mov_b32_e32 v11, s13
	;; [unrolled: 1-line block ×4, first 2 shown]
	global_store_dwordx4 v28, v[0:3], s[10:11]
	global_store_dwordx4 v28, v[10:13], s[10:11] offset:16
	global_store_dwordx4 v28, v[10:13], s[10:11] offset:32
	;; [unrolled: 1-line block ×3, first 2 shown]
	s_and_saveexec_b32 s5, s4
	s_cbranch_execz .LBB7_694
; %bb.687:
	v_mov_b32_e32 v6, 0
	v_mov_b32_e32 v10, s8
	;; [unrolled: 1-line block ×3, first 2 shown]
	s_clause 0x1
	global_load_dwordx2 v[12:13], v6, s[6:7] offset:32 glc dlc
	global_load_dwordx2 v[0:1], v6, s[6:7] offset:40
	s_waitcnt vmcnt(0)
	v_readfirstlane_b32 s10, v0
	v_readfirstlane_b32 s11, v1
	s_and_b64 s[10:11], s[10:11], s[8:9]
	s_mul_i32 s11, s11, 24
	s_mul_hi_u32 s12, s10, 24
	s_mul_i32 s10, s10, 24
	s_add_i32 s12, s12, s11
	v_add_co_u32 v4, vcc_lo, v4, s10
	v_add_co_ci_u32_e64 v5, null, s12, v5, vcc_lo
	s_mov_b32 s10, exec_lo
	global_store_dwordx2 v[4:5], v[12:13], off
	s_waitcnt_vscnt null, 0x0
	global_atomic_cmpswap_x2 v[2:3], v6, v[10:13], s[6:7] offset:32 glc
	s_waitcnt vmcnt(0)
	v_cmpx_ne_u64_e64 v[2:3], v[12:13]
	s_cbranch_execz .LBB7_690
; %bb.688:
	s_mov_b32 s11, 0
.LBB7_689:                              ; =>This Inner Loop Header: Depth=1
	v_mov_b32_e32 v0, s8
	v_mov_b32_e32 v1, s9
	s_sleep 1
	global_store_dwordx2 v[4:5], v[2:3], off
	s_waitcnt_vscnt null, 0x0
	global_atomic_cmpswap_x2 v[0:1], v6, v[0:3], s[6:7] offset:32 glc
	s_waitcnt vmcnt(0)
	v_cmp_eq_u64_e32 vcc_lo, v[0:1], v[2:3]
	v_mov_b32_e32 v3, v1
	v_mov_b32_e32 v2, v0
	s_or_b32 s11, vcc_lo, s11
	s_andn2_b32 exec_lo, exec_lo, s11
	s_cbranch_execnz .LBB7_689
.LBB7_690:
	s_or_b32 exec_lo, exec_lo, s10
	v_mov_b32_e32 v3, 0
	s_mov_b32 s11, exec_lo
	s_mov_b32 s10, exec_lo
	v_mbcnt_lo_u32_b32 v2, s11, 0
	global_load_dwordx2 v[0:1], v3, s[6:7] offset:16
	v_cmpx_eq_u32_e32 0, v2
	s_cbranch_execz .LBB7_692
; %bb.691:
	s_bcnt1_i32_b32 s11, s11
	v_mov_b32_e32 v2, s11
	s_waitcnt vmcnt(0)
	global_atomic_add_x2 v[0:1], v[2:3], off offset:8
.LBB7_692:
	s_or_b32 exec_lo, exec_lo, s10
	s_waitcnt vmcnt(0)
	global_load_dwordx2 v[2:3], v[0:1], off offset:16
	s_waitcnt vmcnt(0)
	v_cmp_eq_u64_e32 vcc_lo, 0, v[2:3]
	s_cbranch_vccnz .LBB7_694
; %bb.693:
	global_load_dword v0, v[0:1], off offset:24
	v_mov_b32_e32 v1, 0
	s_waitcnt vmcnt(0)
	v_readfirstlane_b32 s10, v0
	s_waitcnt_vscnt null, 0x0
	global_store_dwordx2 v[2:3], v[0:1], off
	s_and_b32 m0, s10, 0x7fffff
	s_sendmsg sendmsg(MSG_INTERRUPT)
.LBB7_694:
	s_or_b32 exec_lo, exec_lo, s5
	s_branch .LBB7_698
	.p2align	6
.LBB7_695:                              ;   in Loop: Header=BB7_698 Depth=1
	s_or_b32 exec_lo, exec_lo, s5
	v_readfirstlane_b32 s5, v0
	s_cmp_eq_u32 s5, 0
	s_cbranch_scc1 .LBB7_697
; %bb.696:                              ;   in Loop: Header=BB7_698 Depth=1
	s_sleep 1
	s_cbranch_execnz .LBB7_698
	s_branch .LBB7_700
	.p2align	6
.LBB7_697:
	s_branch .LBB7_700
.LBB7_698:                              ; =>This Inner Loop Header: Depth=1
	v_mov_b32_e32 v0, 1
	s_and_saveexec_b32 s5, s4
	s_cbranch_execz .LBB7_695
; %bb.699:                              ;   in Loop: Header=BB7_698 Depth=1
	global_load_dword v0, v[8:9], off offset:20 glc dlc
	s_waitcnt vmcnt(0)
	buffer_gl1_inv
	buffer_gl0_inv
	v_and_b32_e32 v0, 1, v0
	s_branch .LBB7_695
.LBB7_700:
	s_and_saveexec_b32 s10, s4
	s_cbranch_execz .LBB7_704
; %bb.701:
	v_mov_b32_e32 v6, 0
	s_clause 0x2
	global_load_dwordx2 v[0:1], v6, s[6:7] offset:40
	global_load_dwordx2 v[9:10], v6, s[6:7] offset:24 glc dlc
	global_load_dwordx2 v[2:3], v6, s[6:7]
	s_waitcnt vmcnt(2)
	v_readfirstlane_b32 s12, v0
	v_readfirstlane_b32 s13, v1
	s_add_u32 s11, s12, 1
	s_addc_u32 s14, s13, 0
	s_add_u32 s4, s11, s8
	s_addc_u32 s5, s14, s9
	s_cmp_eq_u64 s[4:5], 0
	s_cselect_b32 s5, s14, s5
	s_cselect_b32 s4, s11, s4
	v_mov_b32_e32 v8, s5
	s_and_b64 s[8:9], s[4:5], s[12:13]
	v_mov_b32_e32 v7, s4
	s_mul_i32 s9, s9, 24
	s_mul_hi_u32 s11, s8, 24
	s_mul_i32 s8, s8, 24
	s_add_i32 s11, s11, s9
	s_waitcnt vmcnt(0)
	v_add_co_u32 v4, vcc_lo, v2, s8
	v_add_co_ci_u32_e64 v5, null, s11, v3, vcc_lo
	global_store_dwordx2 v[4:5], v[9:10], off
	s_waitcnt_vscnt null, 0x0
	global_atomic_cmpswap_x2 v[2:3], v6, v[7:10], s[6:7] offset:24 glc
	s_waitcnt vmcnt(0)
	v_cmp_ne_u64_e32 vcc_lo, v[2:3], v[9:10]
	s_and_b32 exec_lo, exec_lo, vcc_lo
	s_cbranch_execz .LBB7_704
; %bb.702:
	s_mov_b32 s8, 0
.LBB7_703:                              ; =>This Inner Loop Header: Depth=1
	v_mov_b32_e32 v0, s4
	v_mov_b32_e32 v1, s5
	s_sleep 1
	global_store_dwordx2 v[4:5], v[2:3], off
	s_waitcnt_vscnt null, 0x0
	global_atomic_cmpswap_x2 v[0:1], v6, v[0:3], s[6:7] offset:24 glc
	s_waitcnt vmcnt(0)
	v_cmp_eq_u64_e32 vcc_lo, v[0:1], v[2:3]
	v_mov_b32_e32 v3, v1
	v_mov_b32_e32 v2, v0
	s_or_b32 s8, vcc_lo, s8
	s_andn2_b32 exec_lo, exec_lo, s8
	s_cbranch_execnz .LBB7_703
.LBB7_704:
	s_or_b32 exec_lo, exec_lo, s10
.LBB7_705:
	s_add_u32 s8, s54, 0x80
	s_addc_u32 s9, s55, 0
	s_getpc_b64 s[4:5]
	s_add_u32 s4, s4, .str.29@rel32@lo+4
	s_addc_u32 s5, s5, .str.29@rel32@hi+12
	s_getpc_b64 s[6:7]
	s_add_u32 s6, s6, .str.19@rel32@lo+4
	s_addc_u32 s7, s7, .str.19@rel32@hi+12
	s_getpc_b64 s[10:11]
	s_add_u32 s10, s10, __PRETTY_FUNCTION__._ZN7VecsMemIjLi8192EE5fetchEi@rel32@lo+4
	s_addc_u32 s11, s11, __PRETTY_FUNCTION__._ZN7VecsMemIjLi8192EE5fetchEi@rel32@hi+12
	s_waitcnt vmcnt(0)
	v_mov_b32_e32 v0, s4
	v_mov_b32_e32 v1, s5
	;; [unrolled: 1-line block ×7, first 2 shown]
	s_getpc_b64 s[12:13]
	s_add_u32 s12, s12, __assert_fail@rel32@lo+4
	s_addc_u32 s13, s13, __assert_fail@rel32@hi+12
	s_swappc_b64 s[30:31], s[12:13]
	s_or_b32 s21, s21, exec_lo
	s_or_b32 exec_lo, exec_lo, s43
	s_and_saveexec_b32 s4, s42
	s_xor_b32 s42, exec_lo, s4
	s_cbranch_execz .LBB7_330
.LBB7_706:
	s_add_u32 s8, s54, 0x80
	s_addc_u32 s9, s55, 0
	s_getpc_b64 s[4:5]
	s_add_u32 s4, s4, .str.18@rel32@lo+4
	s_addc_u32 s5, s5, .str.18@rel32@hi+12
	s_getpc_b64 s[6:7]
	s_add_u32 s6, s6, .str.19@rel32@lo+4
	s_addc_u32 s7, s7, .str.19@rel32@hi+12
	s_getpc_b64 s[10:11]
	s_add_u32 s10, s10, __PRETTY_FUNCTION__._ZN7VecsMemIjLi8192EE6shrinkEi@rel32@lo+4
	s_addc_u32 s11, s11, __PRETTY_FUNCTION__._ZN7VecsMemIjLi8192EE6shrinkEi@rel32@hi+12
	v_mov_b32_e32 v0, s4
	v_mov_b32_e32 v1, s5
	;; [unrolled: 1-line block ×6, first 2 shown]
	s_waitcnt vmcnt(0)
	v_mov_b32_e32 v6, s11
	s_getpc_b64 s[12:13]
	s_add_u32 s12, s12, __assert_fail@rel32@lo+4
	s_addc_u32 s13, s13, __assert_fail@rel32@hi+12
	s_swappc_b64 s[30:31], s[12:13]
	s_or_b32 s21, s21, exec_lo
	s_or_b32 exec_lo, exec_lo, s42
	s_and_saveexec_b32 s4, s41
	s_xor_b32 s41, exec_lo, s4
	s_cbranch_execz .LBB7_331
.LBB7_707:
	s_add_u32 s8, s54, 0x80
	s_addc_u32 s9, s55, 0
	s_getpc_b64 s[4:5]
	s_add_u32 s4, s4, .str.18@rel32@lo+4
	s_addc_u32 s5, s5, .str.18@rel32@hi+12
	s_getpc_b64 s[6:7]
	s_add_u32 s6, s6, .str.19@rel32@lo+4
	s_addc_u32 s7, s7, .str.19@rel32@hi+12
	s_getpc_b64 s[10:11]
	s_add_u32 s10, s10, __PRETTY_FUNCTION__._ZN7VecsMemIjLi8192EE6shrinkEi@rel32@lo+4
	s_addc_u32 s11, s11, __PRETTY_FUNCTION__._ZN7VecsMemIjLi8192EE6shrinkEi@rel32@hi+12
	v_mov_b32_e32 v0, s4
	v_mov_b32_e32 v1, s5
	;; [unrolled: 1-line block ×6, first 2 shown]
	s_waitcnt vmcnt(0)
	v_mov_b32_e32 v6, s11
	s_getpc_b64 s[12:13]
	s_add_u32 s12, s12, __assert_fail@rel32@lo+4
	s_addc_u32 s13, s13, __assert_fail@rel32@hi+12
	s_swappc_b64 s[30:31], s[12:13]
	s_or_b32 s21, s21, exec_lo
	s_or_b32 exec_lo, exec_lo, s41
	s_and_saveexec_b32 s4, s40
	s_xor_b32 s40, exec_lo, s4
	s_cbranch_execnz .LBB7_332
	s_branch .LBB7_333
.LBB7_708:
	s_cbranch_execz .LBB7_736
; %bb.709:
	v_readfirstlane_b32 s4, v29
	s_waitcnt vmcnt(0)
	v_mov_b32_e32 v8, 0
	v_mov_b32_e32 v9, 0
	v_cmp_eq_u32_e64 s4, s4, v29
	s_and_saveexec_b32 s5, s4
	s_cbranch_execz .LBB7_715
; %bb.710:
	v_mov_b32_e32 v2, 0
	s_mov_b32 s8, exec_lo
	global_load_dwordx2 v[5:6], v2, s[6:7] offset:24 glc dlc
	s_waitcnt vmcnt(0)
	buffer_gl1_inv
	buffer_gl0_inv
	s_clause 0x1
	global_load_dwordx2 v[3:4], v2, s[6:7] offset:40
	global_load_dwordx2 v[7:8], v2, s[6:7]
	s_waitcnt vmcnt(1)
	v_and_b32_e32 v4, v4, v6
	v_and_b32_e32 v3, v3, v5
	v_mul_lo_u32 v4, v4, 24
	v_mul_hi_u32 v9, v3, 24
	v_mul_lo_u32 v3, v3, 24
	v_add_nc_u32_e32 v4, v9, v4
	s_waitcnt vmcnt(0)
	v_add_co_u32 v3, vcc_lo, v7, v3
	v_add_co_ci_u32_e64 v4, null, v8, v4, vcc_lo
	global_load_dwordx2 v[3:4], v[3:4], off glc dlc
	s_waitcnt vmcnt(0)
	global_atomic_cmpswap_x2 v[8:9], v2, v[3:6], s[6:7] offset:24 glc
	s_waitcnt vmcnt(0)
	buffer_gl1_inv
	buffer_gl0_inv
	v_cmpx_ne_u64_e64 v[8:9], v[5:6]
	s_cbranch_execz .LBB7_714
; %bb.711:
	s_mov_b32 s9, 0
	.p2align	6
.LBB7_712:                              ; =>This Inner Loop Header: Depth=1
	s_sleep 1
	s_clause 0x1
	global_load_dwordx2 v[3:4], v2, s[6:7] offset:40
	global_load_dwordx2 v[10:11], v2, s[6:7]
	v_mov_b32_e32 v5, v8
	v_mov_b32_e32 v6, v9
	s_waitcnt vmcnt(1)
	v_and_b32_e32 v3, v3, v5
	v_and_b32_e32 v4, v4, v6
	s_waitcnt vmcnt(0)
	v_mad_u64_u32 v[7:8], null, v3, 24, v[10:11]
	v_mov_b32_e32 v3, v8
	v_mad_u64_u32 v[3:4], null, v4, 24, v[3:4]
	v_mov_b32_e32 v8, v3
	global_load_dwordx2 v[3:4], v[7:8], off glc dlc
	s_waitcnt vmcnt(0)
	global_atomic_cmpswap_x2 v[8:9], v2, v[3:6], s[6:7] offset:24 glc
	s_waitcnt vmcnt(0)
	buffer_gl1_inv
	buffer_gl0_inv
	v_cmp_eq_u64_e32 vcc_lo, v[8:9], v[5:6]
	s_or_b32 s9, vcc_lo, s9
	s_andn2_b32 exec_lo, exec_lo, s9
	s_cbranch_execnz .LBB7_712
; %bb.713:
	s_or_b32 exec_lo, exec_lo, s9
.LBB7_714:
	s_or_b32 exec_lo, exec_lo, s8
.LBB7_715:
	s_or_b32 exec_lo, exec_lo, s5
	v_mov_b32_e32 v2, 0
	v_readfirstlane_b32 s9, v9
	v_readfirstlane_b32 s8, v8
	s_mov_b32 s5, exec_lo
	s_clause 0x1
	global_load_dwordx2 v[10:11], v2, s[6:7] offset:40
	global_load_dwordx4 v[4:7], v2, s[6:7]
	s_waitcnt vmcnt(1)
	v_readfirstlane_b32 s10, v10
	v_readfirstlane_b32 s11, v11
	s_and_b64 s[10:11], s[10:11], s[8:9]
	s_mul_i32 s12, s11, 24
	s_mul_hi_u32 s13, s10, 24
	s_mul_i32 s14, s10, 24
	s_add_i32 s13, s13, s12
	s_waitcnt vmcnt(0)
	v_add_co_u32 v8, vcc_lo, v4, s14
	v_add_co_ci_u32_e64 v9, null, s13, v5, vcc_lo
	s_and_saveexec_b32 s12, s4
	s_cbranch_execz .LBB7_717
; %bb.716:
	v_mov_b32_e32 v10, s5
	v_mov_b32_e32 v11, v2
	;; [unrolled: 1-line block ×4, first 2 shown]
	global_store_dwordx4 v[8:9], v[10:13], off offset:8
.LBB7_717:
	s_or_b32 exec_lo, exec_lo, s12
	s_lshl_b64 s[10:11], s[10:11], 12
	s_mov_b32 s12, 0
	v_add_co_u32 v6, vcc_lo, v6, s10
	v_add_co_ci_u32_e64 v7, null, s11, v7, vcc_lo
	s_mov_b32 s13, s12
	s_mov_b32 s14, s12
	;; [unrolled: 1-line block ×3, first 2 shown]
	v_and_or_b32 v0, 0xffffff1d, v0, 34
	v_mov_b32_e32 v3, v2
	v_readfirstlane_b32 s10, v6
	v_readfirstlane_b32 s11, v7
	v_mov_b32_e32 v10, s12
	v_mov_b32_e32 v11, s13
	;; [unrolled: 1-line block ×4, first 2 shown]
	global_store_dwordx4 v28, v[0:3], s[10:11]
	global_store_dwordx4 v28, v[10:13], s[10:11] offset:16
	global_store_dwordx4 v28, v[10:13], s[10:11] offset:32
	;; [unrolled: 1-line block ×3, first 2 shown]
	s_and_saveexec_b32 s5, s4
	s_cbranch_execz .LBB7_725
; %bb.718:
	v_mov_b32_e32 v6, 0
	v_mov_b32_e32 v10, s8
	;; [unrolled: 1-line block ×3, first 2 shown]
	s_clause 0x1
	global_load_dwordx2 v[12:13], v6, s[6:7] offset:32 glc dlc
	global_load_dwordx2 v[0:1], v6, s[6:7] offset:40
	s_waitcnt vmcnt(0)
	v_readfirstlane_b32 s10, v0
	v_readfirstlane_b32 s11, v1
	s_and_b64 s[10:11], s[10:11], s[8:9]
	s_mul_i32 s11, s11, 24
	s_mul_hi_u32 s12, s10, 24
	s_mul_i32 s10, s10, 24
	s_add_i32 s12, s12, s11
	v_add_co_u32 v4, vcc_lo, v4, s10
	v_add_co_ci_u32_e64 v5, null, s12, v5, vcc_lo
	s_mov_b32 s10, exec_lo
	global_store_dwordx2 v[4:5], v[12:13], off
	s_waitcnt_vscnt null, 0x0
	global_atomic_cmpswap_x2 v[2:3], v6, v[10:13], s[6:7] offset:32 glc
	s_waitcnt vmcnt(0)
	v_cmpx_ne_u64_e64 v[2:3], v[12:13]
	s_cbranch_execz .LBB7_721
; %bb.719:
	s_mov_b32 s11, 0
.LBB7_720:                              ; =>This Inner Loop Header: Depth=1
	v_mov_b32_e32 v0, s8
	v_mov_b32_e32 v1, s9
	s_sleep 1
	global_store_dwordx2 v[4:5], v[2:3], off
	s_waitcnt_vscnt null, 0x0
	global_atomic_cmpswap_x2 v[0:1], v6, v[0:3], s[6:7] offset:32 glc
	s_waitcnt vmcnt(0)
	v_cmp_eq_u64_e32 vcc_lo, v[0:1], v[2:3]
	v_mov_b32_e32 v3, v1
	v_mov_b32_e32 v2, v0
	s_or_b32 s11, vcc_lo, s11
	s_andn2_b32 exec_lo, exec_lo, s11
	s_cbranch_execnz .LBB7_720
.LBB7_721:
	s_or_b32 exec_lo, exec_lo, s10
	v_mov_b32_e32 v3, 0
	s_mov_b32 s11, exec_lo
	s_mov_b32 s10, exec_lo
	v_mbcnt_lo_u32_b32 v2, s11, 0
	global_load_dwordx2 v[0:1], v3, s[6:7] offset:16
	v_cmpx_eq_u32_e32 0, v2
	s_cbranch_execz .LBB7_723
; %bb.722:
	s_bcnt1_i32_b32 s11, s11
	v_mov_b32_e32 v2, s11
	s_waitcnt vmcnt(0)
	global_atomic_add_x2 v[0:1], v[2:3], off offset:8
.LBB7_723:
	s_or_b32 exec_lo, exec_lo, s10
	s_waitcnt vmcnt(0)
	global_load_dwordx2 v[2:3], v[0:1], off offset:16
	s_waitcnt vmcnt(0)
	v_cmp_eq_u64_e32 vcc_lo, 0, v[2:3]
	s_cbranch_vccnz .LBB7_725
; %bb.724:
	global_load_dword v0, v[0:1], off offset:24
	v_mov_b32_e32 v1, 0
	s_waitcnt vmcnt(0)
	v_readfirstlane_b32 s10, v0
	s_waitcnt_vscnt null, 0x0
	global_store_dwordx2 v[2:3], v[0:1], off
	s_and_b32 m0, s10, 0x7fffff
	s_sendmsg sendmsg(MSG_INTERRUPT)
.LBB7_725:
	s_or_b32 exec_lo, exec_lo, s5
	s_branch .LBB7_729
	.p2align	6
.LBB7_726:                              ;   in Loop: Header=BB7_729 Depth=1
	s_or_b32 exec_lo, exec_lo, s5
	v_readfirstlane_b32 s5, v0
	s_cmp_eq_u32 s5, 0
	s_cbranch_scc1 .LBB7_728
; %bb.727:                              ;   in Loop: Header=BB7_729 Depth=1
	s_sleep 1
	s_cbranch_execnz .LBB7_729
	s_branch .LBB7_731
	.p2align	6
.LBB7_728:
	s_branch .LBB7_731
.LBB7_729:                              ; =>This Inner Loop Header: Depth=1
	v_mov_b32_e32 v0, 1
	s_and_saveexec_b32 s5, s4
	s_cbranch_execz .LBB7_726
; %bb.730:                              ;   in Loop: Header=BB7_729 Depth=1
	global_load_dword v0, v[8:9], off offset:20 glc dlc
	s_waitcnt vmcnt(0)
	buffer_gl1_inv
	buffer_gl0_inv
	v_and_b32_e32 v0, 1, v0
	s_branch .LBB7_726
.LBB7_731:
	s_and_saveexec_b32 s10, s4
	s_cbranch_execz .LBB7_735
; %bb.732:
	v_mov_b32_e32 v6, 0
	s_clause 0x2
	global_load_dwordx2 v[0:1], v6, s[6:7] offset:40
	global_load_dwordx2 v[9:10], v6, s[6:7] offset:24 glc dlc
	global_load_dwordx2 v[2:3], v6, s[6:7]
	s_waitcnt vmcnt(2)
	v_readfirstlane_b32 s12, v0
	v_readfirstlane_b32 s13, v1
	s_add_u32 s11, s12, 1
	s_addc_u32 s14, s13, 0
	s_add_u32 s4, s11, s8
	s_addc_u32 s5, s14, s9
	s_cmp_eq_u64 s[4:5], 0
	s_cselect_b32 s5, s14, s5
	s_cselect_b32 s4, s11, s4
	v_mov_b32_e32 v8, s5
	s_and_b64 s[8:9], s[4:5], s[12:13]
	v_mov_b32_e32 v7, s4
	s_mul_i32 s9, s9, 24
	s_mul_hi_u32 s11, s8, 24
	s_mul_i32 s8, s8, 24
	s_add_i32 s11, s11, s9
	s_waitcnt vmcnt(0)
	v_add_co_u32 v4, vcc_lo, v2, s8
	v_add_co_ci_u32_e64 v5, null, s11, v3, vcc_lo
	global_store_dwordx2 v[4:5], v[9:10], off
	s_waitcnt_vscnt null, 0x0
	global_atomic_cmpswap_x2 v[2:3], v6, v[7:10], s[6:7] offset:24 glc
	s_waitcnt vmcnt(0)
	v_cmp_ne_u64_e32 vcc_lo, v[2:3], v[9:10]
	s_and_b32 exec_lo, exec_lo, vcc_lo
	s_cbranch_execz .LBB7_735
; %bb.733:
	s_mov_b32 s8, 0
.LBB7_734:                              ; =>This Inner Loop Header: Depth=1
	v_mov_b32_e32 v0, s4
	v_mov_b32_e32 v1, s5
	s_sleep 1
	global_store_dwordx2 v[4:5], v[2:3], off
	s_waitcnt_vscnt null, 0x0
	global_atomic_cmpswap_x2 v[0:1], v6, v[0:3], s[6:7] offset:24 glc
	s_waitcnt vmcnt(0)
	v_cmp_eq_u64_e32 vcc_lo, v[0:1], v[2:3]
	v_mov_b32_e32 v3, v1
	v_mov_b32_e32 v2, v0
	s_or_b32 s8, vcc_lo, s8
	s_andn2_b32 exec_lo, exec_lo, s8
	s_cbranch_execnz .LBB7_734
.LBB7_735:
	s_or_b32 exec_lo, exec_lo, s10
.LBB7_736:
	s_add_u32 s8, s54, 0x80
	s_addc_u32 s9, s55, 0
	s_getpc_b64 s[4:5]
	s_add_u32 s4, s4, .str.29@rel32@lo+4
	s_addc_u32 s5, s5, .str.29@rel32@hi+12
	s_getpc_b64 s[6:7]
	s_add_u32 s6, s6, .str.19@rel32@lo+4
	s_addc_u32 s7, s7, .str.19@rel32@hi+12
	s_getpc_b64 s[10:11]
	s_add_u32 s10, s10, __PRETTY_FUNCTION__._ZN7VecsMemIjLi8192EE5fetchEi@rel32@lo+4
	s_addc_u32 s11, s11, __PRETTY_FUNCTION__._ZN7VecsMemIjLi8192EE5fetchEi@rel32@hi+12
	s_waitcnt vmcnt(0)
	v_mov_b32_e32 v0, s4
	v_mov_b32_e32 v1, s5
	;; [unrolled: 1-line block ×7, first 2 shown]
	s_getpc_b64 s[12:13]
	s_add_u32 s12, s12, __assert_fail@rel32@lo+4
	s_addc_u32 s13, s13, __assert_fail@rel32@hi+12
	s_swappc_b64 s[30:31], s[12:13]
	s_or_b32 s21, s21, exec_lo
	s_or_b32 exec_lo, exec_lo, s40
	s_and_saveexec_b32 s4, s38
	s_xor_b32 s38, exec_lo, s4
	s_cbranch_execz .LBB7_335
.LBB7_737:
	s_add_u32 s8, s54, 0x80
	s_addc_u32 s9, s55, 0
	s_getpc_b64 s[4:5]
	s_add_u32 s4, s4, .str.18@rel32@lo+4
	s_addc_u32 s5, s5, .str.18@rel32@hi+12
	s_getpc_b64 s[6:7]
	s_add_u32 s6, s6, .str.19@rel32@lo+4
	s_addc_u32 s7, s7, .str.19@rel32@hi+12
	s_getpc_b64 s[10:11]
	s_add_u32 s10, s10, __PRETTY_FUNCTION__._ZN7VecsMemIjLi8192EE6shrinkEi@rel32@lo+4
	s_addc_u32 s11, s11, __PRETTY_FUNCTION__._ZN7VecsMemIjLi8192EE6shrinkEi@rel32@hi+12
	v_mov_b32_e32 v0, s4
	v_mov_b32_e32 v1, s5
	;; [unrolled: 1-line block ×6, first 2 shown]
	s_waitcnt vmcnt(0)
	v_mov_b32_e32 v6, s11
	s_getpc_b64 s[12:13]
	s_add_u32 s12, s12, __assert_fail@rel32@lo+4
	s_addc_u32 s13, s13, __assert_fail@rel32@hi+12
	s_swappc_b64 s[30:31], s[12:13]
	s_or_b32 s21, s21, exec_lo
	s_or_b32 exec_lo, exec_lo, s38
	s_and_saveexec_b32 s4, s37
	s_xor_b32 s37, exec_lo, s4
	s_cbranch_execnz .LBB7_336
	s_branch .LBB7_337
.LBB7_738:
	s_cbranch_execz .LBB7_766
; %bb.739:
	v_readfirstlane_b32 s4, v29
	s_waitcnt vmcnt(0)
	v_mov_b32_e32 v8, 0
	v_mov_b32_e32 v9, 0
	v_cmp_eq_u32_e64 s4, s4, v29
	s_and_saveexec_b32 s5, s4
	s_cbranch_execz .LBB7_745
; %bb.740:
	v_mov_b32_e32 v2, 0
	s_mov_b32 s8, exec_lo
	global_load_dwordx2 v[5:6], v2, s[6:7] offset:24 glc dlc
	s_waitcnt vmcnt(0)
	buffer_gl1_inv
	buffer_gl0_inv
	s_clause 0x1
	global_load_dwordx2 v[3:4], v2, s[6:7] offset:40
	global_load_dwordx2 v[7:8], v2, s[6:7]
	s_waitcnt vmcnt(1)
	v_and_b32_e32 v4, v4, v6
	v_and_b32_e32 v3, v3, v5
	v_mul_lo_u32 v4, v4, 24
	v_mul_hi_u32 v9, v3, 24
	v_mul_lo_u32 v3, v3, 24
	v_add_nc_u32_e32 v4, v9, v4
	s_waitcnt vmcnt(0)
	v_add_co_u32 v3, vcc_lo, v7, v3
	v_add_co_ci_u32_e64 v4, null, v8, v4, vcc_lo
	global_load_dwordx2 v[3:4], v[3:4], off glc dlc
	s_waitcnt vmcnt(0)
	global_atomic_cmpswap_x2 v[8:9], v2, v[3:6], s[6:7] offset:24 glc
	s_waitcnt vmcnt(0)
	buffer_gl1_inv
	buffer_gl0_inv
	v_cmpx_ne_u64_e64 v[8:9], v[5:6]
	s_cbranch_execz .LBB7_744
; %bb.741:
	s_mov_b32 s9, 0
	.p2align	6
.LBB7_742:                              ; =>This Inner Loop Header: Depth=1
	s_sleep 1
	s_clause 0x1
	global_load_dwordx2 v[3:4], v2, s[6:7] offset:40
	global_load_dwordx2 v[10:11], v2, s[6:7]
	v_mov_b32_e32 v5, v8
	v_mov_b32_e32 v6, v9
	s_waitcnt vmcnt(1)
	v_and_b32_e32 v3, v3, v5
	v_and_b32_e32 v4, v4, v6
	s_waitcnt vmcnt(0)
	v_mad_u64_u32 v[7:8], null, v3, 24, v[10:11]
	v_mov_b32_e32 v3, v8
	v_mad_u64_u32 v[3:4], null, v4, 24, v[3:4]
	v_mov_b32_e32 v8, v3
	global_load_dwordx2 v[3:4], v[7:8], off glc dlc
	s_waitcnt vmcnt(0)
	global_atomic_cmpswap_x2 v[8:9], v2, v[3:6], s[6:7] offset:24 glc
	s_waitcnt vmcnt(0)
	buffer_gl1_inv
	buffer_gl0_inv
	v_cmp_eq_u64_e32 vcc_lo, v[8:9], v[5:6]
	s_or_b32 s9, vcc_lo, s9
	s_andn2_b32 exec_lo, exec_lo, s9
	s_cbranch_execnz .LBB7_742
; %bb.743:
	s_or_b32 exec_lo, exec_lo, s9
.LBB7_744:
	s_or_b32 exec_lo, exec_lo, s8
.LBB7_745:
	s_or_b32 exec_lo, exec_lo, s5
	v_mov_b32_e32 v2, 0
	v_readfirstlane_b32 s9, v9
	v_readfirstlane_b32 s8, v8
	s_mov_b32 s5, exec_lo
	s_clause 0x1
	global_load_dwordx2 v[10:11], v2, s[6:7] offset:40
	global_load_dwordx4 v[4:7], v2, s[6:7]
	s_waitcnt vmcnt(1)
	v_readfirstlane_b32 s10, v10
	v_readfirstlane_b32 s11, v11
	s_and_b64 s[10:11], s[10:11], s[8:9]
	s_mul_i32 s12, s11, 24
	s_mul_hi_u32 s13, s10, 24
	s_mul_i32 s14, s10, 24
	s_add_i32 s13, s13, s12
	s_waitcnt vmcnt(0)
	v_add_co_u32 v8, vcc_lo, v4, s14
	v_add_co_ci_u32_e64 v9, null, s13, v5, vcc_lo
	s_and_saveexec_b32 s12, s4
	s_cbranch_execz .LBB7_747
; %bb.746:
	v_mov_b32_e32 v10, s5
	v_mov_b32_e32 v11, v2
	;; [unrolled: 1-line block ×4, first 2 shown]
	global_store_dwordx4 v[8:9], v[10:13], off offset:8
.LBB7_747:
	s_or_b32 exec_lo, exec_lo, s12
	s_lshl_b64 s[10:11], s[10:11], 12
	s_mov_b32 s12, 0
	v_add_co_u32 v6, vcc_lo, v6, s10
	v_add_co_ci_u32_e64 v7, null, s11, v7, vcc_lo
	s_mov_b32 s13, s12
	s_mov_b32 s14, s12
	;; [unrolled: 1-line block ×3, first 2 shown]
	v_and_or_b32 v0, 0xffffff1d, v0, 34
	v_mov_b32_e32 v3, v2
	v_readfirstlane_b32 s10, v6
	v_readfirstlane_b32 s11, v7
	v_mov_b32_e32 v10, s12
	v_mov_b32_e32 v11, s13
	;; [unrolled: 1-line block ×4, first 2 shown]
	global_store_dwordx4 v28, v[0:3], s[10:11]
	global_store_dwordx4 v28, v[10:13], s[10:11] offset:16
	global_store_dwordx4 v28, v[10:13], s[10:11] offset:32
	;; [unrolled: 1-line block ×3, first 2 shown]
	s_and_saveexec_b32 s5, s4
	s_cbranch_execz .LBB7_755
; %bb.748:
	v_mov_b32_e32 v6, 0
	v_mov_b32_e32 v10, s8
	;; [unrolled: 1-line block ×3, first 2 shown]
	s_clause 0x1
	global_load_dwordx2 v[12:13], v6, s[6:7] offset:32 glc dlc
	global_load_dwordx2 v[0:1], v6, s[6:7] offset:40
	s_waitcnt vmcnt(0)
	v_readfirstlane_b32 s10, v0
	v_readfirstlane_b32 s11, v1
	s_and_b64 s[10:11], s[10:11], s[8:9]
	s_mul_i32 s11, s11, 24
	s_mul_hi_u32 s12, s10, 24
	s_mul_i32 s10, s10, 24
	s_add_i32 s12, s12, s11
	v_add_co_u32 v4, vcc_lo, v4, s10
	v_add_co_ci_u32_e64 v5, null, s12, v5, vcc_lo
	s_mov_b32 s10, exec_lo
	global_store_dwordx2 v[4:5], v[12:13], off
	s_waitcnt_vscnt null, 0x0
	global_atomic_cmpswap_x2 v[2:3], v6, v[10:13], s[6:7] offset:32 glc
	s_waitcnt vmcnt(0)
	v_cmpx_ne_u64_e64 v[2:3], v[12:13]
	s_cbranch_execz .LBB7_751
; %bb.749:
	s_mov_b32 s11, 0
.LBB7_750:                              ; =>This Inner Loop Header: Depth=1
	v_mov_b32_e32 v0, s8
	v_mov_b32_e32 v1, s9
	s_sleep 1
	global_store_dwordx2 v[4:5], v[2:3], off
	s_waitcnt_vscnt null, 0x0
	global_atomic_cmpswap_x2 v[0:1], v6, v[0:3], s[6:7] offset:32 glc
	s_waitcnt vmcnt(0)
	v_cmp_eq_u64_e32 vcc_lo, v[0:1], v[2:3]
	v_mov_b32_e32 v3, v1
	v_mov_b32_e32 v2, v0
	s_or_b32 s11, vcc_lo, s11
	s_andn2_b32 exec_lo, exec_lo, s11
	s_cbranch_execnz .LBB7_750
.LBB7_751:
	s_or_b32 exec_lo, exec_lo, s10
	v_mov_b32_e32 v3, 0
	s_mov_b32 s11, exec_lo
	s_mov_b32 s10, exec_lo
	v_mbcnt_lo_u32_b32 v2, s11, 0
	global_load_dwordx2 v[0:1], v3, s[6:7] offset:16
	v_cmpx_eq_u32_e32 0, v2
	s_cbranch_execz .LBB7_753
; %bb.752:
	s_bcnt1_i32_b32 s11, s11
	v_mov_b32_e32 v2, s11
	s_waitcnt vmcnt(0)
	global_atomic_add_x2 v[0:1], v[2:3], off offset:8
.LBB7_753:
	s_or_b32 exec_lo, exec_lo, s10
	s_waitcnt vmcnt(0)
	global_load_dwordx2 v[2:3], v[0:1], off offset:16
	s_waitcnt vmcnt(0)
	v_cmp_eq_u64_e32 vcc_lo, 0, v[2:3]
	s_cbranch_vccnz .LBB7_755
; %bb.754:
	global_load_dword v0, v[0:1], off offset:24
	v_mov_b32_e32 v1, 0
	s_waitcnt vmcnt(0)
	v_readfirstlane_b32 s10, v0
	s_waitcnt_vscnt null, 0x0
	global_store_dwordx2 v[2:3], v[0:1], off
	s_and_b32 m0, s10, 0x7fffff
	s_sendmsg sendmsg(MSG_INTERRUPT)
.LBB7_755:
	s_or_b32 exec_lo, exec_lo, s5
	s_branch .LBB7_759
	.p2align	6
.LBB7_756:                              ;   in Loop: Header=BB7_759 Depth=1
	s_or_b32 exec_lo, exec_lo, s5
	v_readfirstlane_b32 s5, v0
	s_cmp_eq_u32 s5, 0
	s_cbranch_scc1 .LBB7_758
; %bb.757:                              ;   in Loop: Header=BB7_759 Depth=1
	s_sleep 1
	s_cbranch_execnz .LBB7_759
	s_branch .LBB7_761
	.p2align	6
.LBB7_758:
	s_branch .LBB7_761
.LBB7_759:                              ; =>This Inner Loop Header: Depth=1
	v_mov_b32_e32 v0, 1
	s_and_saveexec_b32 s5, s4
	s_cbranch_execz .LBB7_756
; %bb.760:                              ;   in Loop: Header=BB7_759 Depth=1
	global_load_dword v0, v[8:9], off offset:20 glc dlc
	s_waitcnt vmcnt(0)
	buffer_gl1_inv
	buffer_gl0_inv
	v_and_b32_e32 v0, 1, v0
	s_branch .LBB7_756
.LBB7_761:
	s_and_saveexec_b32 s10, s4
	s_cbranch_execz .LBB7_765
; %bb.762:
	v_mov_b32_e32 v6, 0
	s_clause 0x2
	global_load_dwordx2 v[0:1], v6, s[6:7] offset:40
	global_load_dwordx2 v[9:10], v6, s[6:7] offset:24 glc dlc
	global_load_dwordx2 v[2:3], v6, s[6:7]
	s_waitcnt vmcnt(2)
	v_readfirstlane_b32 s12, v0
	v_readfirstlane_b32 s13, v1
	s_add_u32 s11, s12, 1
	s_addc_u32 s14, s13, 0
	s_add_u32 s4, s11, s8
	s_addc_u32 s5, s14, s9
	s_cmp_eq_u64 s[4:5], 0
	s_cselect_b32 s5, s14, s5
	s_cselect_b32 s4, s11, s4
	v_mov_b32_e32 v8, s5
	s_and_b64 s[8:9], s[4:5], s[12:13]
	v_mov_b32_e32 v7, s4
	s_mul_i32 s9, s9, 24
	s_mul_hi_u32 s11, s8, 24
	s_mul_i32 s8, s8, 24
	s_add_i32 s11, s11, s9
	s_waitcnt vmcnt(0)
	v_add_co_u32 v4, vcc_lo, v2, s8
	v_add_co_ci_u32_e64 v5, null, s11, v3, vcc_lo
	global_store_dwordx2 v[4:5], v[9:10], off
	s_waitcnt_vscnt null, 0x0
	global_atomic_cmpswap_x2 v[2:3], v6, v[7:10], s[6:7] offset:24 glc
	s_waitcnt vmcnt(0)
	v_cmp_ne_u64_e32 vcc_lo, v[2:3], v[9:10]
	s_and_b32 exec_lo, exec_lo, vcc_lo
	s_cbranch_execz .LBB7_765
; %bb.763:
	s_mov_b32 s8, 0
.LBB7_764:                              ; =>This Inner Loop Header: Depth=1
	v_mov_b32_e32 v0, s4
	v_mov_b32_e32 v1, s5
	s_sleep 1
	global_store_dwordx2 v[4:5], v[2:3], off
	s_waitcnt_vscnt null, 0x0
	global_atomic_cmpswap_x2 v[0:1], v6, v[0:3], s[6:7] offset:24 glc
	s_waitcnt vmcnt(0)
	v_cmp_eq_u64_e32 vcc_lo, v[0:1], v[2:3]
	v_mov_b32_e32 v3, v1
	v_mov_b32_e32 v2, v0
	s_or_b32 s8, vcc_lo, s8
	s_andn2_b32 exec_lo, exec_lo, s8
	s_cbranch_execnz .LBB7_764
.LBB7_765:
	s_or_b32 exec_lo, exec_lo, s10
.LBB7_766:
	s_add_u32 s8, s54, 0x80
	s_addc_u32 s9, s55, 0
	s_getpc_b64 s[4:5]
	s_add_u32 s4, s4, .str.29@rel32@lo+4
	s_addc_u32 s5, s5, .str.29@rel32@hi+12
	s_getpc_b64 s[6:7]
	s_add_u32 s6, s6, .str.19@rel32@lo+4
	s_addc_u32 s7, s7, .str.19@rel32@hi+12
	s_getpc_b64 s[10:11]
	s_add_u32 s10, s10, __PRETTY_FUNCTION__._ZN7VecsMemIjLi8192EE5fetchEi@rel32@lo+4
	s_addc_u32 s11, s11, __PRETTY_FUNCTION__._ZN7VecsMemIjLi8192EE5fetchEi@rel32@hi+12
	s_waitcnt vmcnt(0)
	v_mov_b32_e32 v0, s4
	v_mov_b32_e32 v1, s5
	;; [unrolled: 1-line block ×7, first 2 shown]
	s_getpc_b64 s[12:13]
	s_add_u32 s12, s12, __assert_fail@rel32@lo+4
	s_addc_u32 s13, s13, __assert_fail@rel32@hi+12
	s_swappc_b64 s[30:31], s[12:13]
	s_or_b32 s21, s21, exec_lo
	s_or_b32 exec_lo, exec_lo, s34
	s_and_saveexec_b32 s4, s28
	s_xor_b32 s28, exec_lo, s4
	s_cbranch_execz .LBB7_345
.LBB7_767:
	s_add_u32 s8, s54, 0x80
	s_addc_u32 s9, s55, 0
	s_getpc_b64 s[4:5]
	s_add_u32 s4, s4, .str.30@rel32@lo+4
	s_addc_u32 s5, s5, .str.30@rel32@hi+12
	s_getpc_b64 s[6:7]
	s_add_u32 s6, s6, .str.31@rel32@lo+4
	s_addc_u32 s7, s7, .str.31@rel32@hi+12
	s_getpc_b64 s[10:11]
	s_add_u32 s10, s10, __PRETTY_FUNCTION__._ZN3sop9sopFactorEPjiiPKiiP7VecsMemIjLi8192EEPN8subgUtil4SubgILi256EEE@rel32@lo+4
	s_addc_u32 s11, s11, __PRETTY_FUNCTION__._ZN3sop9sopFactorEPjiiPKiiP7VecsMemIjLi8192EEPN8subgUtil4SubgILi256EEE@rel32@hi+12
	v_mov_b32_e32 v0, s4
	v_mov_b32_e32 v1, s5
	;; [unrolled: 1-line block ×6, first 2 shown]
	s_waitcnt vmcnt(0)
	v_mov_b32_e32 v6, s11
	s_getpc_b64 s[12:13]
	s_add_u32 s12, s12, __assert_fail@rel32@lo+4
	s_addc_u32 s13, s13, __assert_fail@rel32@hi+12
	s_swappc_b64 s[30:31], s[12:13]
	s_or_b32 s21, s21, exec_lo
	s_or_b32 exec_lo, exec_lo, s28
	s_and_saveexec_b32 s28, s27
	s_cbranch_execz .LBB7_346
.LBB7_768:
	s_add_u32 s8, s54, 0x80
	s_addc_u32 s9, s55, 0
	s_getpc_b64 s[4:5]
	s_add_u32 s4, s4, .str.18@rel32@lo+4
	s_addc_u32 s5, s5, .str.18@rel32@hi+12
	s_getpc_b64 s[6:7]
	s_add_u32 s6, s6, .str.19@rel32@lo+4
	s_addc_u32 s7, s7, .str.19@rel32@hi+12
	s_getpc_b64 s[10:11]
	s_add_u32 s10, s10, __PRETTY_FUNCTION__._ZN7VecsMemIjLi8192EE6shrinkEi@rel32@lo+4
	s_addc_u32 s11, s11, __PRETTY_FUNCTION__._ZN7VecsMemIjLi8192EE6shrinkEi@rel32@hi+12
	v_mov_b32_e32 v0, s4
	v_mov_b32_e32 v1, s5
	;; [unrolled: 1-line block ×6, first 2 shown]
	s_waitcnt vmcnt(0)
	v_mov_b32_e32 v6, s11
	s_getpc_b64 s[12:13]
	s_add_u32 s12, s12, __assert_fail@rel32@lo+4
	s_addc_u32 s13, s13, __assert_fail@rel32@hi+12
	s_swappc_b64 s[30:31], s[12:13]
	s_or_b32 s21, s21, exec_lo
	s_or_b32 exec_lo, exec_lo, s28
	s_and_saveexec_b32 s4, s26
	s_xor_b32 s26, exec_lo, s4
	s_cbranch_execz .LBB7_347
.LBB7_769:
	s_add_u32 s8, s54, 0x80
	s_addc_u32 s9, s55, 0
	s_getpc_b64 s[4:5]
	s_add_u32 s4, s4, .str.18@rel32@lo+4
	s_addc_u32 s5, s5, .str.18@rel32@hi+12
	s_getpc_b64 s[6:7]
	s_add_u32 s6, s6, .str.19@rel32@lo+4
	s_addc_u32 s7, s7, .str.19@rel32@hi+12
	s_getpc_b64 s[10:11]
	s_add_u32 s10, s10, __PRETTY_FUNCTION__._ZN7VecsMemIjLi8192EE6shrinkEi@rel32@lo+4
	s_addc_u32 s11, s11, __PRETTY_FUNCTION__._ZN7VecsMemIjLi8192EE6shrinkEi@rel32@hi+12
	v_mov_b32_e32 v0, s4
	v_mov_b32_e32 v1, s5
	;; [unrolled: 1-line block ×6, first 2 shown]
	s_waitcnt vmcnt(0)
	v_mov_b32_e32 v6, s11
	s_getpc_b64 s[12:13]
	s_add_u32 s12, s12, __assert_fail@rel32@lo+4
	s_addc_u32 s13, s13, __assert_fail@rel32@hi+12
	s_swappc_b64 s[30:31], s[12:13]
	s_or_b32 s21, s21, exec_lo
	s_or_b32 exec_lo, exec_lo, s26
	s_and_saveexec_b32 s4, s25
	s_xor_b32 s25, exec_lo, s4
	s_cbranch_execz .LBB7_348
.LBB7_770:
	s_add_u32 s8, s54, 0x80
	s_addc_u32 s9, s55, 0
	s_getpc_b64 s[4:5]
	s_add_u32 s4, s4, .str.17@rel32@lo+4
	s_addc_u32 s5, s5, .str.17@rel32@hi+12
	s_getpc_b64 s[6:7]
	s_add_u32 s6, s6, .str.16@rel32@lo+4
	s_addc_u32 s7, s7, .str.16@rel32@hi+12
	s_getpc_b64 s[10:11]
	s_add_u32 s10, s10, __PRETTY_FUNCTION__._ZN3sop10minatoIsopEPKjiP7VecsMemIjLi8192EE@rel32@lo+4
	s_addc_u32 s11, s11, __PRETTY_FUNCTION__._ZN3sop10minatoIsopEPKjiP7VecsMemIjLi8192EE@rel32@hi+12
	v_mov_b32_e32 v0, s4
	v_mov_b32_e32 v1, s5
	v_mov_b32_e32 v2, s6
	v_mov_b32_e32 v3, s7
	v_mov_b32_e32 v4, 0xc2
	v_mov_b32_e32 v5, s10
	s_waitcnt vmcnt(0)
	v_mov_b32_e32 v6, s11
	s_getpc_b64 s[12:13]
	s_add_u32 s12, s12, __assert_fail@rel32@lo+4
	s_addc_u32 s13, s13, __assert_fail@rel32@hi+12
	s_swappc_b64 s[30:31], s[12:13]
	s_or_b32 s21, s21, exec_lo
	s_or_b32 exec_lo, exec_lo, s25
	s_and_saveexec_b32 s25, s24
	s_cbranch_execz .LBB7_349
.LBB7_771:
	v_readlane_b32 s4, v78, 0
	v_readlane_b32 s5, v78, 1
	v_mbcnt_lo_u32_b32 v29, -1, 0
	s_waitcnt vmcnt(0)
	v_mov_b32_e32 v6, 0
	v_mov_b32_e32 v7, 0
	s_load_dwordx2 s[6:7], s[4:5], 0x50
	v_readfirstlane_b32 s4, v29
	v_cmp_eq_u32_e64 s4, s4, v29
	s_and_saveexec_b32 s5, s4
	s_cbranch_execz .LBB7_777
; %bb.772:
	v_mov_b32_e32 v0, 0
	s_mov_b32 s8, exec_lo
	s_waitcnt lgkmcnt(0)
	global_load_dwordx2 v[3:4], v0, s[6:7] offset:24 glc dlc
	s_waitcnt vmcnt(0)
	buffer_gl1_inv
	buffer_gl0_inv
	s_clause 0x1
	global_load_dwordx2 v[1:2], v0, s[6:7] offset:40
	global_load_dwordx2 v[5:6], v0, s[6:7]
	s_waitcnt vmcnt(1)
	v_and_b32_e32 v2, v2, v4
	v_and_b32_e32 v1, v1, v3
	v_mul_lo_u32 v2, v2, 24
	v_mul_hi_u32 v7, v1, 24
	v_mul_lo_u32 v1, v1, 24
	v_add_nc_u32_e32 v2, v7, v2
	s_waitcnt vmcnt(0)
	v_add_co_u32 v1, vcc_lo, v5, v1
	v_add_co_ci_u32_e64 v2, null, v6, v2, vcc_lo
	global_load_dwordx2 v[1:2], v[1:2], off glc dlc
	s_waitcnt vmcnt(0)
	global_atomic_cmpswap_x2 v[6:7], v0, v[1:4], s[6:7] offset:24 glc
	s_waitcnt vmcnt(0)
	buffer_gl1_inv
	buffer_gl0_inv
	v_cmpx_ne_u64_e64 v[6:7], v[3:4]
	s_cbranch_execz .LBB7_776
; %bb.773:
	s_mov_b32 s9, 0
	.p2align	6
.LBB7_774:                              ; =>This Inner Loop Header: Depth=1
	s_sleep 1
	s_clause 0x1
	global_load_dwordx2 v[1:2], v0, s[6:7] offset:40
	global_load_dwordx2 v[8:9], v0, s[6:7]
	v_mov_b32_e32 v3, v6
	v_mov_b32_e32 v4, v7
	s_waitcnt vmcnt(1)
	v_and_b32_e32 v1, v1, v3
	v_and_b32_e32 v2, v2, v4
	s_waitcnt vmcnt(0)
	v_mad_u64_u32 v[5:6], null, v1, 24, v[8:9]
	v_mov_b32_e32 v1, v6
	v_mad_u64_u32 v[1:2], null, v2, 24, v[1:2]
	v_mov_b32_e32 v6, v1
	global_load_dwordx2 v[1:2], v[5:6], off glc dlc
	s_waitcnt vmcnt(0)
	global_atomic_cmpswap_x2 v[6:7], v0, v[1:4], s[6:7] offset:24 glc
	s_waitcnt vmcnt(0)
	buffer_gl1_inv
	buffer_gl0_inv
	v_cmp_eq_u64_e32 vcc_lo, v[6:7], v[3:4]
	s_or_b32 s9, vcc_lo, s9
	s_andn2_b32 exec_lo, exec_lo, s9
	s_cbranch_execnz .LBB7_774
; %bb.775:
	s_or_b32 exec_lo, exec_lo, s9
.LBB7_776:
	s_or_b32 exec_lo, exec_lo, s8
.LBB7_777:
	s_or_b32 exec_lo, exec_lo, s5
	v_mov_b32_e32 v5, 0
	v_readfirstlane_b32 s9, v7
	v_readfirstlane_b32 s8, v6
	s_mov_b32 s5, exec_lo
	s_waitcnt lgkmcnt(0)
	s_clause 0x1
	global_load_dwordx2 v[8:9], v5, s[6:7] offset:40
	global_load_dwordx4 v[0:3], v5, s[6:7]
	s_waitcnt vmcnt(1)
	v_readfirstlane_b32 s10, v8
	v_readfirstlane_b32 s11, v9
	s_and_b64 s[10:11], s[10:11], s[8:9]
	s_mul_i32 s12, s11, 24
	s_mul_hi_u32 s13, s10, 24
	s_mul_i32 s14, s10, 24
	s_add_i32 s13, s13, s12
	s_waitcnt vmcnt(0)
	v_add_co_u32 v8, vcc_lo, v0, s14
	v_add_co_ci_u32_e64 v9, null, s13, v1, vcc_lo
	s_and_saveexec_b32 s12, s4
	s_cbranch_execz .LBB7_779
; %bb.778:
	v_mov_b32_e32 v4, s5
	v_mov_b32_e32 v6, 2
	;; [unrolled: 1-line block ×3, first 2 shown]
	global_store_dwordx4 v[8:9], v[4:7], off offset:8
.LBB7_779:
	s_or_b32 exec_lo, exec_lo, s12
	s_lshl_b64 s[10:11], s[10:11], 12
	v_lshlrev_b32_e32 v28, 6, v29
	v_add_co_u32 v2, vcc_lo, v2, s10
	v_add_co_ci_u32_e64 v3, null, s11, v3, vcc_lo
	s_mov_b32 s12, 0
	v_add_co_u32 v10, vcc_lo, v2, v28
	s_mov_b32 s13, s12
	s_mov_b32 s14, s12
	;; [unrolled: 1-line block ×3, first 2 shown]
	v_mov_b32_e32 v4, 33
	v_mov_b32_e32 v6, v5
	;; [unrolled: 1-line block ×3, first 2 shown]
	v_readfirstlane_b32 s10, v2
	v_readfirstlane_b32 s11, v3
	v_mov_b32_e32 v12, s12
	v_add_co_ci_u32_e64 v11, null, 0, v3, vcc_lo
	v_mov_b32_e32 v13, s13
	v_mov_b32_e32 v14, s14
	;; [unrolled: 1-line block ×3, first 2 shown]
	global_store_dwordx4 v28, v[4:7], s[10:11]
	global_store_dwordx4 v28, v[12:15], s[10:11] offset:16
	global_store_dwordx4 v28, v[12:15], s[10:11] offset:32
	;; [unrolled: 1-line block ×3, first 2 shown]
	s_and_saveexec_b32 s5, s4
	s_cbranch_execz .LBB7_787
; %bb.780:
	v_mov_b32_e32 v6, 0
	v_mov_b32_e32 v12, s8
	;; [unrolled: 1-line block ×3, first 2 shown]
	s_mov_b32 s10, exec_lo
	s_clause 0x1
	global_load_dwordx2 v[14:15], v6, s[6:7] offset:32 glc dlc
	global_load_dwordx2 v[2:3], v6, s[6:7] offset:40
	s_waitcnt vmcnt(0)
	v_and_b32_e32 v3, s9, v3
	v_and_b32_e32 v2, s8, v2
	v_mul_lo_u32 v3, v3, 24
	v_mul_hi_u32 v4, v2, 24
	v_mul_lo_u32 v2, v2, 24
	v_add_nc_u32_e32 v3, v4, v3
	v_add_co_u32 v4, vcc_lo, v0, v2
	v_add_co_ci_u32_e64 v5, null, v1, v3, vcc_lo
	global_store_dwordx2 v[4:5], v[14:15], off
	s_waitcnt_vscnt null, 0x0
	global_atomic_cmpswap_x2 v[2:3], v6, v[12:15], s[6:7] offset:32 glc
	s_waitcnt vmcnt(0)
	v_cmpx_ne_u64_e64 v[2:3], v[14:15]
	s_cbranch_execz .LBB7_783
; %bb.781:
	s_mov_b32 s11, 0
.LBB7_782:                              ; =>This Inner Loop Header: Depth=1
	v_mov_b32_e32 v0, s8
	v_mov_b32_e32 v1, s9
	s_sleep 1
	global_store_dwordx2 v[4:5], v[2:3], off
	s_waitcnt_vscnt null, 0x0
	global_atomic_cmpswap_x2 v[0:1], v6, v[0:3], s[6:7] offset:32 glc
	s_waitcnt vmcnt(0)
	v_cmp_eq_u64_e32 vcc_lo, v[0:1], v[2:3]
	v_mov_b32_e32 v3, v1
	v_mov_b32_e32 v2, v0
	s_or_b32 s11, vcc_lo, s11
	s_andn2_b32 exec_lo, exec_lo, s11
	s_cbranch_execnz .LBB7_782
.LBB7_783:
	s_or_b32 exec_lo, exec_lo, s10
	v_mov_b32_e32 v3, 0
	s_mov_b32 s11, exec_lo
	s_mov_b32 s10, exec_lo
	v_mbcnt_lo_u32_b32 v2, s11, 0
	global_load_dwordx2 v[0:1], v3, s[6:7] offset:16
	v_cmpx_eq_u32_e32 0, v2
	s_cbranch_execz .LBB7_785
; %bb.784:
	s_bcnt1_i32_b32 s11, s11
	v_mov_b32_e32 v2, s11
	s_waitcnt vmcnt(0)
	global_atomic_add_x2 v[0:1], v[2:3], off offset:8
.LBB7_785:
	s_or_b32 exec_lo, exec_lo, s10
	s_waitcnt vmcnt(0)
	global_load_dwordx2 v[2:3], v[0:1], off offset:16
	s_waitcnt vmcnt(0)
	v_cmp_eq_u64_e32 vcc_lo, 0, v[2:3]
	s_cbranch_vccnz .LBB7_787
; %bb.786:
	global_load_dword v0, v[0:1], off offset:24
	v_mov_b32_e32 v1, 0
	s_waitcnt vmcnt(0)
	v_readfirstlane_b32 s10, v0
	s_waitcnt_vscnt null, 0x0
	global_store_dwordx2 v[2:3], v[0:1], off
	s_and_b32 m0, s10, 0x7fffff
	s_sendmsg sendmsg(MSG_INTERRUPT)
.LBB7_787:
	s_or_b32 exec_lo, exec_lo, s5
	s_branch .LBB7_791
	.p2align	6
.LBB7_788:                              ;   in Loop: Header=BB7_791 Depth=1
	s_or_b32 exec_lo, exec_lo, s5
	v_readfirstlane_b32 s5, v0
	s_cmp_eq_u32 s5, 0
	s_cbranch_scc1 .LBB7_790
; %bb.789:                              ;   in Loop: Header=BB7_791 Depth=1
	s_sleep 1
	s_cbranch_execnz .LBB7_791
	s_branch .LBB7_793
	.p2align	6
.LBB7_790:
	s_branch .LBB7_793
.LBB7_791:                              ; =>This Inner Loop Header: Depth=1
	v_mov_b32_e32 v0, 1
	s_and_saveexec_b32 s5, s4
	s_cbranch_execz .LBB7_788
; %bb.792:                              ;   in Loop: Header=BB7_791 Depth=1
	global_load_dword v0, v[8:9], off offset:20 glc dlc
	s_waitcnt vmcnt(0)
	buffer_gl1_inv
	buffer_gl0_inv
	v_and_b32_e32 v0, 1, v0
	s_branch .LBB7_788
.LBB7_793:
	global_load_dwordx2 v[0:1], v[10:11], off
	s_and_saveexec_b32 s10, s4
	s_cbranch_execz .LBB7_797
; %bb.794:
	v_mov_b32_e32 v8, 0
	s_clause 0x2
	global_load_dwordx2 v[2:3], v8, s[6:7] offset:40
	global_load_dwordx2 v[11:12], v8, s[6:7] offset:24 glc dlc
	global_load_dwordx2 v[4:5], v8, s[6:7]
	s_waitcnt vmcnt(2)
	v_readfirstlane_b32 s12, v2
	v_readfirstlane_b32 s13, v3
	s_add_u32 s11, s12, 1
	s_addc_u32 s14, s13, 0
	s_add_u32 s4, s11, s8
	s_addc_u32 s5, s14, s9
	s_cmp_eq_u64 s[4:5], 0
	s_cselect_b32 s5, s14, s5
	s_cselect_b32 s4, s11, s4
	v_mov_b32_e32 v10, s5
	s_and_b64 s[8:9], s[4:5], s[12:13]
	v_mov_b32_e32 v9, s4
	s_mul_i32 s9, s9, 24
	s_mul_hi_u32 s11, s8, 24
	s_mul_i32 s8, s8, 24
	s_add_i32 s11, s11, s9
	s_waitcnt vmcnt(0)
	v_add_co_u32 v6, vcc_lo, v4, s8
	v_add_co_ci_u32_e64 v7, null, s11, v5, vcc_lo
	global_store_dwordx2 v[6:7], v[11:12], off
	s_waitcnt_vscnt null, 0x0
	global_atomic_cmpswap_x2 v[4:5], v8, v[9:12], s[6:7] offset:24 glc
	s_waitcnt vmcnt(0)
	v_cmp_ne_u64_e32 vcc_lo, v[4:5], v[11:12]
	s_and_b32 exec_lo, exec_lo, vcc_lo
	s_cbranch_execz .LBB7_797
; %bb.795:
	s_mov_b32 s8, 0
.LBB7_796:                              ; =>This Inner Loop Header: Depth=1
	v_mov_b32_e32 v2, s4
	v_mov_b32_e32 v3, s5
	s_sleep 1
	global_store_dwordx2 v[6:7], v[4:5], off
	s_waitcnt_vscnt null, 0x0
	global_atomic_cmpswap_x2 v[2:3], v8, v[2:5], s[6:7] offset:24 glc
	s_waitcnt vmcnt(0)
	v_cmp_eq_u64_e32 vcc_lo, v[2:3], v[4:5]
	v_mov_b32_e32 v5, v3
	v_mov_b32_e32 v4, v2
	s_or_b32 s8, vcc_lo, s8
	s_andn2_b32 exec_lo, exec_lo, s8
	s_cbranch_execnz .LBB7_796
.LBB7_797:
	s_or_b32 exec_lo, exec_lo, s10
	s_getpc_b64 s[8:9]
	s_add_u32 s8, s8, .str.28@rel32@lo+4
	s_addc_u32 s9, s9, .str.28@rel32@hi+12
	s_cmp_lg_u64 s[8:9], 0
	s_cbranch_scc0 .LBB7_876
; %bb.798:
	s_waitcnt vmcnt(0)
	v_and_b32_e32 v6, -3, v0
	v_mov_b32_e32 v7, v1
	v_mov_b32_e32 v3, 0
	;; [unrolled: 1-line block ×4, first 2 shown]
	s_mov_b64 s[10:11], 35
	s_branch .LBB7_800
.LBB7_799:                              ;   in Loop: Header=BB7_800 Depth=1
	s_or_b32 exec_lo, exec_lo, s16
	s_sub_u32 s10, s10, s12
	s_subb_u32 s11, s11, s13
	s_add_u32 s8, s8, s12
	s_addc_u32 s9, s9, s13
	s_cmp_lg_u64 s[10:11], 0
	s_cbranch_scc0 .LBB7_875
.LBB7_800:                              ; =>This Loop Header: Depth=1
                                        ;     Child Loop BB7_803 Depth 2
                                        ;     Child Loop BB7_810 Depth 2
	;; [unrolled: 1-line block ×11, first 2 shown]
	v_cmp_lt_u64_e64 s4, s[10:11], 56
	v_cmp_gt_u64_e64 s14, s[10:11], 7
	s_and_b32 s4, s4, exec_lo
	s_cselect_b32 s13, s11, 0
	s_cselect_b32 s12, s10, 56
	s_add_u32 s4, s8, 8
	s_addc_u32 s5, s9, 0
	s_and_b32 vcc_lo, exec_lo, s14
	s_cbranch_vccnz .LBB7_805
; %bb.801:                              ;   in Loop: Header=BB7_800 Depth=1
	s_waitcnt vmcnt(0)
	v_mov_b32_e32 v8, 0
	v_mov_b32_e32 v9, 0
	s_cmp_eq_u64 s[10:11], 0
	s_cbranch_scc1 .LBB7_804
; %bb.802:                              ;   in Loop: Header=BB7_800 Depth=1
	s_lshl_b64 s[4:5], s[12:13], 3
	s_mov_b64 s[14:15], 0
	s_mov_b64 s[16:17], s[8:9]
.LBB7_803:                              ;   Parent Loop BB7_800 Depth=1
                                        ; =>  This Inner Loop Header: Depth=2
	global_load_ubyte v2, v3, s[16:17]
	s_waitcnt vmcnt(0)
	v_and_b32_e32 v2, 0xffff, v2
	v_lshlrev_b64 v[10:11], s14, v[2:3]
	s_add_u32 s14, s14, 8
	s_addc_u32 s15, s15, 0
	s_add_u32 s16, s16, 1
	s_addc_u32 s17, s17, 0
	s_cmp_lg_u32 s4, s14
	v_or_b32_e32 v8, v10, v8
	v_or_b32_e32 v9, v11, v9
	s_cbranch_scc1 .LBB7_803
.LBB7_804:                              ;   in Loop: Header=BB7_800 Depth=1
	s_mov_b64 s[4:5], s[8:9]
	s_mov_b32 s18, 0
	s_cbranch_execz .LBB7_806
	s_branch .LBB7_807
.LBB7_805:                              ;   in Loop: Header=BB7_800 Depth=1
	s_mov_b32 s18, 0
.LBB7_806:                              ;   in Loop: Header=BB7_800 Depth=1
	global_load_dwordx2 v[8:9], v3, s[8:9]
	s_add_i32 s18, s12, -8
.LBB7_807:                              ;   in Loop: Header=BB7_800 Depth=1
	s_add_u32 s14, s4, 8
	s_addc_u32 s15, s5, 0
	s_cmp_gt_u32 s18, 7
	s_cbranch_scc1 .LBB7_812
; %bb.808:                              ;   in Loop: Header=BB7_800 Depth=1
	v_mov_b32_e32 v10, 0
	v_mov_b32_e32 v11, 0
	s_cmp_eq_u32 s18, 0
	s_cbranch_scc1 .LBB7_811
; %bb.809:                              ;   in Loop: Header=BB7_800 Depth=1
	s_mov_b64 s[14:15], 0
	s_mov_b64 s[16:17], 0
.LBB7_810:                              ;   Parent Loop BB7_800 Depth=1
                                        ; =>  This Inner Loop Header: Depth=2
	s_add_u32 s26, s4, s16
	s_addc_u32 s27, s5, s17
	s_add_u32 s16, s16, 1
	global_load_ubyte v2, v3, s[26:27]
	s_addc_u32 s17, s17, 0
	s_waitcnt vmcnt(0)
	v_and_b32_e32 v2, 0xffff, v2
	v_lshlrev_b64 v[12:13], s14, v[2:3]
	s_add_u32 s14, s14, 8
	s_addc_u32 s15, s15, 0
	s_cmp_lg_u32 s18, s16
	v_or_b32_e32 v10, v12, v10
	v_or_b32_e32 v11, v13, v11
	s_cbranch_scc1 .LBB7_810
.LBB7_811:                              ;   in Loop: Header=BB7_800 Depth=1
	s_mov_b64 s[14:15], s[4:5]
	s_mov_b32 s19, 0
	s_cbranch_execz .LBB7_813
	s_branch .LBB7_814
.LBB7_812:                              ;   in Loop: Header=BB7_800 Depth=1
                                        ; implicit-def: $vgpr10_vgpr11
	s_mov_b32 s19, 0
.LBB7_813:                              ;   in Loop: Header=BB7_800 Depth=1
	global_load_dwordx2 v[10:11], v3, s[4:5]
	s_add_i32 s19, s18, -8
.LBB7_814:                              ;   in Loop: Header=BB7_800 Depth=1
	s_add_u32 s4, s14, 8
	s_addc_u32 s5, s15, 0
	s_cmp_gt_u32 s19, 7
	s_cbranch_scc1 .LBB7_819
; %bb.815:                              ;   in Loop: Header=BB7_800 Depth=1
	v_mov_b32_e32 v12, 0
	v_mov_b32_e32 v13, 0
	s_cmp_eq_u32 s19, 0
	s_cbranch_scc1 .LBB7_818
; %bb.816:                              ;   in Loop: Header=BB7_800 Depth=1
	s_mov_b64 s[4:5], 0
	s_mov_b64 s[16:17], 0
.LBB7_817:                              ;   Parent Loop BB7_800 Depth=1
                                        ; =>  This Inner Loop Header: Depth=2
	s_add_u32 s26, s14, s16
	s_addc_u32 s27, s15, s17
	s_add_u32 s16, s16, 1
	global_load_ubyte v2, v3, s[26:27]
	s_addc_u32 s17, s17, 0
	s_waitcnt vmcnt(0)
	v_and_b32_e32 v2, 0xffff, v2
	v_lshlrev_b64 v[14:15], s4, v[2:3]
	s_add_u32 s4, s4, 8
	s_addc_u32 s5, s5, 0
	s_cmp_lg_u32 s19, s16
	v_or_b32_e32 v12, v14, v12
	v_or_b32_e32 v13, v15, v13
	s_cbranch_scc1 .LBB7_817
.LBB7_818:                              ;   in Loop: Header=BB7_800 Depth=1
	s_mov_b64 s[4:5], s[14:15]
	s_mov_b32 s18, 0
	s_cbranch_execz .LBB7_820
	s_branch .LBB7_821
.LBB7_819:                              ;   in Loop: Header=BB7_800 Depth=1
	s_mov_b32 s18, 0
.LBB7_820:                              ;   in Loop: Header=BB7_800 Depth=1
	global_load_dwordx2 v[12:13], v3, s[14:15]
	s_add_i32 s18, s19, -8
.LBB7_821:                              ;   in Loop: Header=BB7_800 Depth=1
	s_add_u32 s14, s4, 8
	s_addc_u32 s15, s5, 0
	s_cmp_gt_u32 s18, 7
	s_cbranch_scc1 .LBB7_826
; %bb.822:                              ;   in Loop: Header=BB7_800 Depth=1
	v_mov_b32_e32 v14, 0
	v_mov_b32_e32 v15, 0
	s_cmp_eq_u32 s18, 0
	s_cbranch_scc1 .LBB7_825
; %bb.823:                              ;   in Loop: Header=BB7_800 Depth=1
	s_mov_b64 s[14:15], 0
	s_mov_b64 s[16:17], 0
.LBB7_824:                              ;   Parent Loop BB7_800 Depth=1
                                        ; =>  This Inner Loop Header: Depth=2
	s_add_u32 s26, s4, s16
	s_addc_u32 s27, s5, s17
	s_add_u32 s16, s16, 1
	global_load_ubyte v2, v3, s[26:27]
	s_addc_u32 s17, s17, 0
	s_waitcnt vmcnt(0)
	v_and_b32_e32 v2, 0xffff, v2
	v_lshlrev_b64 v[16:17], s14, v[2:3]
	s_add_u32 s14, s14, 8
	s_addc_u32 s15, s15, 0
	s_cmp_lg_u32 s18, s16
	v_or_b32_e32 v14, v16, v14
	v_or_b32_e32 v15, v17, v15
	s_cbranch_scc1 .LBB7_824
.LBB7_825:                              ;   in Loop: Header=BB7_800 Depth=1
	s_mov_b64 s[14:15], s[4:5]
	s_mov_b32 s19, 0
	s_cbranch_execz .LBB7_827
	s_branch .LBB7_828
.LBB7_826:                              ;   in Loop: Header=BB7_800 Depth=1
                                        ; implicit-def: $vgpr14_vgpr15
	s_mov_b32 s19, 0
.LBB7_827:                              ;   in Loop: Header=BB7_800 Depth=1
	global_load_dwordx2 v[14:15], v3, s[4:5]
	s_add_i32 s19, s18, -8
.LBB7_828:                              ;   in Loop: Header=BB7_800 Depth=1
	s_add_u32 s4, s14, 8
	s_addc_u32 s5, s15, 0
	s_cmp_gt_u32 s19, 7
	s_cbranch_scc1 .LBB7_833
; %bb.829:                              ;   in Loop: Header=BB7_800 Depth=1
	v_mov_b32_e32 v16, 0
	v_mov_b32_e32 v17, 0
	s_cmp_eq_u32 s19, 0
	s_cbranch_scc1 .LBB7_832
; %bb.830:                              ;   in Loop: Header=BB7_800 Depth=1
	s_mov_b64 s[4:5], 0
	s_mov_b64 s[16:17], 0
.LBB7_831:                              ;   Parent Loop BB7_800 Depth=1
                                        ; =>  This Inner Loop Header: Depth=2
	s_add_u32 s26, s14, s16
	s_addc_u32 s27, s15, s17
	s_add_u32 s16, s16, 1
	global_load_ubyte v2, v3, s[26:27]
	s_addc_u32 s17, s17, 0
	s_waitcnt vmcnt(0)
	v_and_b32_e32 v2, 0xffff, v2
	v_lshlrev_b64 v[18:19], s4, v[2:3]
	s_add_u32 s4, s4, 8
	s_addc_u32 s5, s5, 0
	s_cmp_lg_u32 s19, s16
	v_or_b32_e32 v16, v18, v16
	v_or_b32_e32 v17, v19, v17
	s_cbranch_scc1 .LBB7_831
.LBB7_832:                              ;   in Loop: Header=BB7_800 Depth=1
	s_mov_b64 s[4:5], s[14:15]
	s_mov_b32 s18, 0
	s_cbranch_execz .LBB7_834
	s_branch .LBB7_835
.LBB7_833:                              ;   in Loop: Header=BB7_800 Depth=1
	s_mov_b32 s18, 0
.LBB7_834:                              ;   in Loop: Header=BB7_800 Depth=1
	global_load_dwordx2 v[16:17], v3, s[14:15]
	s_add_i32 s18, s19, -8
.LBB7_835:                              ;   in Loop: Header=BB7_800 Depth=1
	s_add_u32 s14, s4, 8
	s_addc_u32 s15, s5, 0
	s_cmp_gt_u32 s18, 7
	s_cbranch_scc1 .LBB7_840
; %bb.836:                              ;   in Loop: Header=BB7_800 Depth=1
	v_mov_b32_e32 v18, 0
	v_mov_b32_e32 v19, 0
	s_cmp_eq_u32 s18, 0
	s_cbranch_scc1 .LBB7_839
; %bb.837:                              ;   in Loop: Header=BB7_800 Depth=1
	s_mov_b64 s[14:15], 0
	s_mov_b64 s[16:17], 0
.LBB7_838:                              ;   Parent Loop BB7_800 Depth=1
                                        ; =>  This Inner Loop Header: Depth=2
	s_add_u32 s26, s4, s16
	s_addc_u32 s27, s5, s17
	s_add_u32 s16, s16, 1
	global_load_ubyte v2, v3, s[26:27]
	s_addc_u32 s17, s17, 0
	s_waitcnt vmcnt(0)
	v_and_b32_e32 v2, 0xffff, v2
	v_lshlrev_b64 v[20:21], s14, v[2:3]
	s_add_u32 s14, s14, 8
	s_addc_u32 s15, s15, 0
	s_cmp_lg_u32 s18, s16
	v_or_b32_e32 v18, v20, v18
	v_or_b32_e32 v19, v21, v19
	s_cbranch_scc1 .LBB7_838
.LBB7_839:                              ;   in Loop: Header=BB7_800 Depth=1
	s_mov_b64 s[14:15], s[4:5]
	s_mov_b32 s19, 0
	s_cbranch_execz .LBB7_841
	s_branch .LBB7_842
.LBB7_840:                              ;   in Loop: Header=BB7_800 Depth=1
                                        ; implicit-def: $vgpr18_vgpr19
	s_mov_b32 s19, 0
.LBB7_841:                              ;   in Loop: Header=BB7_800 Depth=1
	global_load_dwordx2 v[18:19], v3, s[4:5]
	s_add_i32 s19, s18, -8
.LBB7_842:                              ;   in Loop: Header=BB7_800 Depth=1
	s_cmp_gt_u32 s19, 7
	s_cbranch_scc1 .LBB7_847
; %bb.843:                              ;   in Loop: Header=BB7_800 Depth=1
	v_mov_b32_e32 v20, 0
	v_mov_b32_e32 v21, 0
	s_cmp_eq_u32 s19, 0
	s_cbranch_scc1 .LBB7_846
; %bb.844:                              ;   in Loop: Header=BB7_800 Depth=1
	s_mov_b64 s[4:5], 0
	s_mov_b64 s[16:17], s[14:15]
.LBB7_845:                              ;   Parent Loop BB7_800 Depth=1
                                        ; =>  This Inner Loop Header: Depth=2
	global_load_ubyte v2, v3, s[16:17]
	s_add_i32 s19, s19, -1
	s_waitcnt vmcnt(0)
	v_and_b32_e32 v2, 0xffff, v2
	v_lshlrev_b64 v[22:23], s4, v[2:3]
	s_add_u32 s4, s4, 8
	s_addc_u32 s5, s5, 0
	s_add_u32 s16, s16, 1
	s_addc_u32 s17, s17, 0
	s_cmp_lg_u32 s19, 0
	v_or_b32_e32 v20, v22, v20
	v_or_b32_e32 v21, v23, v21
	s_cbranch_scc1 .LBB7_845
.LBB7_846:                              ;   in Loop: Header=BB7_800 Depth=1
	s_cbranch_execz .LBB7_848
	s_branch .LBB7_849
.LBB7_847:                              ;   in Loop: Header=BB7_800 Depth=1
.LBB7_848:                              ;   in Loop: Header=BB7_800 Depth=1
	global_load_dwordx2 v[20:21], v3, s[14:15]
.LBB7_849:                              ;   in Loop: Header=BB7_800 Depth=1
	v_readfirstlane_b32 s4, v29
	v_mov_b32_e32 v26, 0
	v_mov_b32_e32 v27, 0
	v_cmp_eq_u32_e64 s4, s4, v29
	s_and_saveexec_b32 s5, s4
	s_cbranch_execz .LBB7_855
; %bb.850:                              ;   in Loop: Header=BB7_800 Depth=1
	global_load_dwordx2 v[24:25], v3, s[6:7] offset:24 glc dlc
	s_waitcnt vmcnt(0)
	buffer_gl1_inv
	buffer_gl0_inv
	s_clause 0x1
	global_load_dwordx2 v[22:23], v3, s[6:7] offset:40
	global_load_dwordx2 v[26:27], v3, s[6:7]
	s_mov_b32 s14, exec_lo
	s_waitcnt vmcnt(1)
	v_and_b32_e32 v2, v23, v25
	v_and_b32_e32 v22, v22, v24
	v_mul_lo_u32 v2, v2, 24
	v_mul_hi_u32 v23, v22, 24
	v_mul_lo_u32 v22, v22, 24
	v_add_nc_u32_e32 v2, v23, v2
	s_waitcnt vmcnt(0)
	v_add_co_u32 v22, vcc_lo, v26, v22
	v_add_co_ci_u32_e64 v23, null, v27, v2, vcc_lo
	global_load_dwordx2 v[22:23], v[22:23], off glc dlc
	s_waitcnt vmcnt(0)
	global_atomic_cmpswap_x2 v[26:27], v3, v[22:25], s[6:7] offset:24 glc
	s_waitcnt vmcnt(0)
	buffer_gl1_inv
	buffer_gl0_inv
	v_cmpx_ne_u64_e64 v[26:27], v[24:25]
	s_cbranch_execz .LBB7_854
; %bb.851:                              ;   in Loop: Header=BB7_800 Depth=1
	s_mov_b32 s15, 0
	.p2align	6
.LBB7_852:                              ;   Parent Loop BB7_800 Depth=1
                                        ; =>  This Inner Loop Header: Depth=2
	s_sleep 1
	s_clause 0x1
	global_load_dwordx2 v[22:23], v3, s[6:7] offset:40
	global_load_dwordx2 v[30:31], v3, s[6:7]
	v_mov_b32_e32 v24, v26
	v_mov_b32_e32 v25, v27
	s_waitcnt vmcnt(1)
	v_and_b32_e32 v2, v22, v24
	v_and_b32_e32 v22, v23, v25
	s_waitcnt vmcnt(0)
	v_mad_u64_u32 v[26:27], null, v2, 24, v[30:31]
	v_mov_b32_e32 v2, v27
	v_mad_u64_u32 v[22:23], null, v22, 24, v[2:3]
	v_mov_b32_e32 v27, v22
	global_load_dwordx2 v[22:23], v[26:27], off glc dlc
	s_waitcnt vmcnt(0)
	global_atomic_cmpswap_x2 v[26:27], v3, v[22:25], s[6:7] offset:24 glc
	s_waitcnt vmcnt(0)
	buffer_gl1_inv
	buffer_gl0_inv
	v_cmp_eq_u64_e32 vcc_lo, v[26:27], v[24:25]
	s_or_b32 s15, vcc_lo, s15
	s_andn2_b32 exec_lo, exec_lo, s15
	s_cbranch_execnz .LBB7_852
; %bb.853:                              ;   in Loop: Header=BB7_800 Depth=1
	s_or_b32 exec_lo, exec_lo, s15
.LBB7_854:                              ;   in Loop: Header=BB7_800 Depth=1
	s_or_b32 exec_lo, exec_lo, s14
.LBB7_855:                              ;   in Loop: Header=BB7_800 Depth=1
	s_or_b32 exec_lo, exec_lo, s5
	s_clause 0x1
	global_load_dwordx2 v[30:31], v3, s[6:7] offset:40
	global_load_dwordx4 v[22:25], v3, s[6:7]
	v_readfirstlane_b32 s15, v27
	v_readfirstlane_b32 s14, v26
	s_mov_b32 s5, exec_lo
	s_waitcnt vmcnt(1)
	v_readfirstlane_b32 s16, v30
	v_readfirstlane_b32 s17, v31
	s_and_b64 s[16:17], s[16:17], s[14:15]
	s_mul_i32 s18, s17, 24
	s_mul_hi_u32 s19, s16, 24
	s_mul_i32 s20, s16, 24
	s_add_i32 s19, s19, s18
	s_waitcnt vmcnt(0)
	v_add_co_u32 v26, vcc_lo, v22, s20
	v_add_co_ci_u32_e64 v27, null, s19, v23, vcc_lo
	s_and_saveexec_b32 s18, s4
	s_cbranch_execz .LBB7_857
; %bb.856:                              ;   in Loop: Header=BB7_800 Depth=1
	v_mov_b32_e32 v2, s5
	global_store_dwordx4 v[26:27], v[2:5], off offset:8
.LBB7_857:                              ;   in Loop: Header=BB7_800 Depth=1
	s_or_b32 exec_lo, exec_lo, s18
	v_cmp_gt_u64_e64 s5, s[10:11], 56
	s_lshl_b64 s[16:17], s[16:17], 12
	v_and_b32_e32 v2, 0xffffff1f, v6
	v_add_co_u32 v24, vcc_lo, v24, s16
	v_add_co_ci_u32_e64 v25, null, s17, v25, vcc_lo
	s_and_b32 s5, s5, exec_lo
	s_cselect_b32 s5, 0, 2
	s_lshl_b32 s18, s12, 2
	v_or_b32_e32 v2, s5, v2
	v_readfirstlane_b32 s16, v24
	v_readfirstlane_b32 s17, v25
	s_add_i32 s18, s18, 28
	v_and_or_b32 v6, 0x1e0, s18, v2
	global_store_dwordx4 v28, v[10:13], s[16:17] offset:16
	global_store_dwordx4 v28, v[14:17], s[16:17] offset:32
	global_store_dwordx4 v28, v[6:9], s[16:17]
	global_store_dwordx4 v28, v[18:21], s[16:17] offset:48
	s_and_saveexec_b32 s5, s4
	s_cbranch_execz .LBB7_865
; %bb.858:                              ;   in Loop: Header=BB7_800 Depth=1
	s_clause 0x1
	global_load_dwordx2 v[14:15], v3, s[6:7] offset:32 glc dlc
	global_load_dwordx2 v[6:7], v3, s[6:7] offset:40
	v_mov_b32_e32 v12, s14
	v_mov_b32_e32 v13, s15
	s_waitcnt vmcnt(0)
	v_readfirstlane_b32 s16, v6
	v_readfirstlane_b32 s17, v7
	s_and_b64 s[16:17], s[16:17], s[14:15]
	s_mul_i32 s17, s17, 24
	s_mul_hi_u32 s18, s16, 24
	s_mul_i32 s16, s16, 24
	s_add_i32 s18, s18, s17
	v_add_co_u32 v10, vcc_lo, v22, s16
	v_add_co_ci_u32_e64 v11, null, s18, v23, vcc_lo
	s_mov_b32 s16, exec_lo
	global_store_dwordx2 v[10:11], v[14:15], off
	s_waitcnt_vscnt null, 0x0
	global_atomic_cmpswap_x2 v[8:9], v3, v[12:15], s[6:7] offset:32 glc
	s_waitcnt vmcnt(0)
	v_cmpx_ne_u64_e64 v[8:9], v[14:15]
	s_cbranch_execz .LBB7_861
; %bb.859:                              ;   in Loop: Header=BB7_800 Depth=1
	s_mov_b32 s17, 0
.LBB7_860:                              ;   Parent Loop BB7_800 Depth=1
                                        ; =>  This Inner Loop Header: Depth=2
	v_mov_b32_e32 v6, s14
	v_mov_b32_e32 v7, s15
	s_sleep 1
	global_store_dwordx2 v[10:11], v[8:9], off
	s_waitcnt_vscnt null, 0x0
	global_atomic_cmpswap_x2 v[6:7], v3, v[6:9], s[6:7] offset:32 glc
	s_waitcnt vmcnt(0)
	v_cmp_eq_u64_e32 vcc_lo, v[6:7], v[8:9]
	v_mov_b32_e32 v9, v7
	v_mov_b32_e32 v8, v6
	s_or_b32 s17, vcc_lo, s17
	s_andn2_b32 exec_lo, exec_lo, s17
	s_cbranch_execnz .LBB7_860
.LBB7_861:                              ;   in Loop: Header=BB7_800 Depth=1
	s_or_b32 exec_lo, exec_lo, s16
	global_load_dwordx2 v[6:7], v3, s[6:7] offset:16
	s_mov_b32 s17, exec_lo
	s_mov_b32 s16, exec_lo
	v_mbcnt_lo_u32_b32 v2, s17, 0
	v_cmpx_eq_u32_e32 0, v2
	s_cbranch_execz .LBB7_863
; %bb.862:                              ;   in Loop: Header=BB7_800 Depth=1
	s_bcnt1_i32_b32 s17, s17
	v_mov_b32_e32 v2, s17
	s_waitcnt vmcnt(0)
	global_atomic_add_x2 v[6:7], v[2:3], off offset:8
.LBB7_863:                              ;   in Loop: Header=BB7_800 Depth=1
	s_or_b32 exec_lo, exec_lo, s16
	s_waitcnt vmcnt(0)
	global_load_dwordx2 v[8:9], v[6:7], off offset:16
	s_waitcnt vmcnt(0)
	v_cmp_eq_u64_e32 vcc_lo, 0, v[8:9]
	s_cbranch_vccnz .LBB7_865
; %bb.864:                              ;   in Loop: Header=BB7_800 Depth=1
	global_load_dword v2, v[6:7], off offset:24
	s_waitcnt vmcnt(0)
	v_readfirstlane_b32 s16, v2
	s_waitcnt_vscnt null, 0x0
	global_store_dwordx2 v[8:9], v[2:3], off
	s_and_b32 m0, s16, 0x7fffff
	s_sendmsg sendmsg(MSG_INTERRUPT)
.LBB7_865:                              ;   in Loop: Header=BB7_800 Depth=1
	s_or_b32 exec_lo, exec_lo, s5
	v_add_co_u32 v6, vcc_lo, v24, v28
	v_add_co_ci_u32_e64 v7, null, 0, v25, vcc_lo
	s_branch .LBB7_869
	.p2align	6
.LBB7_866:                              ;   in Loop: Header=BB7_869 Depth=2
	s_or_b32 exec_lo, exec_lo, s5
	v_readfirstlane_b32 s5, v2
	s_cmp_eq_u32 s5, 0
	s_cbranch_scc1 .LBB7_868
; %bb.867:                              ;   in Loop: Header=BB7_869 Depth=2
	s_sleep 1
	s_cbranch_execnz .LBB7_869
	s_branch .LBB7_871
	.p2align	6
.LBB7_868:                              ;   in Loop: Header=BB7_800 Depth=1
	s_branch .LBB7_871
.LBB7_869:                              ;   Parent Loop BB7_800 Depth=1
                                        ; =>  This Inner Loop Header: Depth=2
	v_mov_b32_e32 v2, 1
	s_and_saveexec_b32 s5, s4
	s_cbranch_execz .LBB7_866
; %bb.870:                              ;   in Loop: Header=BB7_869 Depth=2
	global_load_dword v2, v[26:27], off offset:20 glc dlc
	s_waitcnt vmcnt(0)
	buffer_gl1_inv
	buffer_gl0_inv
	v_and_b32_e32 v2, 1, v2
	s_branch .LBB7_866
.LBB7_871:                              ;   in Loop: Header=BB7_800 Depth=1
	global_load_dwordx4 v[6:9], v[6:7], off
	s_and_saveexec_b32 s16, s4
	s_cbranch_execz .LBB7_799
; %bb.872:                              ;   in Loop: Header=BB7_800 Depth=1
	s_clause 0x2
	global_load_dwordx2 v[8:9], v3, s[6:7] offset:40
	global_load_dwordx2 v[16:17], v3, s[6:7] offset:24 glc dlc
	global_load_dwordx2 v[10:11], v3, s[6:7]
	s_waitcnt vmcnt(2)
	v_readfirstlane_b32 s18, v8
	v_readfirstlane_b32 s19, v9
	s_add_u32 s17, s18, 1
	s_addc_u32 s20, s19, 0
	s_add_u32 s4, s17, s14
	s_addc_u32 s5, s20, s15
	s_cmp_eq_u64 s[4:5], 0
	s_cselect_b32 s5, s20, s5
	s_cselect_b32 s4, s17, s4
	v_mov_b32_e32 v15, s5
	s_and_b64 s[14:15], s[4:5], s[18:19]
	v_mov_b32_e32 v14, s4
	s_mul_i32 s15, s15, 24
	s_mul_hi_u32 s17, s14, 24
	s_mul_i32 s14, s14, 24
	s_add_i32 s17, s17, s15
	s_waitcnt vmcnt(0)
	v_add_co_u32 v12, vcc_lo, v10, s14
	v_add_co_ci_u32_e64 v13, null, s17, v11, vcc_lo
	global_store_dwordx2 v[12:13], v[16:17], off
	s_waitcnt_vscnt null, 0x0
	global_atomic_cmpswap_x2 v[10:11], v3, v[14:17], s[6:7] offset:24 glc
	s_waitcnt vmcnt(0)
	v_cmp_ne_u64_e32 vcc_lo, v[10:11], v[16:17]
	s_and_b32 exec_lo, exec_lo, vcc_lo
	s_cbranch_execz .LBB7_799
; %bb.873:                              ;   in Loop: Header=BB7_800 Depth=1
	s_mov_b32 s14, 0
.LBB7_874:                              ;   Parent Loop BB7_800 Depth=1
                                        ; =>  This Inner Loop Header: Depth=2
	v_mov_b32_e32 v8, s4
	v_mov_b32_e32 v9, s5
	s_sleep 1
	global_store_dwordx2 v[12:13], v[10:11], off
	s_waitcnt_vscnt null, 0x0
	global_atomic_cmpswap_x2 v[8:9], v3, v[8:11], s[6:7] offset:24 glc
	s_waitcnt vmcnt(0)
	v_cmp_eq_u64_e32 vcc_lo, v[8:9], v[10:11]
	v_mov_b32_e32 v11, v9
	v_mov_b32_e32 v10, v8
	s_or_b32 s14, vcc_lo, s14
	s_andn2_b32 exec_lo, exec_lo, s14
	s_cbranch_execnz .LBB7_874
	s_branch .LBB7_799
.LBB7_875:
	s_branch .LBB7_904
.LBB7_876:
	s_cbranch_execz .LBB7_904
; %bb.877:
	v_readfirstlane_b32 s4, v29
	s_waitcnt vmcnt(0)
	v_mov_b32_e32 v8, 0
	v_mov_b32_e32 v9, 0
	v_cmp_eq_u32_e64 s4, s4, v29
	s_and_saveexec_b32 s5, s4
	s_cbranch_execz .LBB7_883
; %bb.878:
	v_mov_b32_e32 v2, 0
	s_mov_b32 s8, exec_lo
	global_load_dwordx2 v[5:6], v2, s[6:7] offset:24 glc dlc
	s_waitcnt vmcnt(0)
	buffer_gl1_inv
	buffer_gl0_inv
	s_clause 0x1
	global_load_dwordx2 v[3:4], v2, s[6:7] offset:40
	global_load_dwordx2 v[7:8], v2, s[6:7]
	s_waitcnt vmcnt(1)
	v_and_b32_e32 v4, v4, v6
	v_and_b32_e32 v3, v3, v5
	v_mul_lo_u32 v4, v4, 24
	v_mul_hi_u32 v9, v3, 24
	v_mul_lo_u32 v3, v3, 24
	v_add_nc_u32_e32 v4, v9, v4
	s_waitcnt vmcnt(0)
	v_add_co_u32 v3, vcc_lo, v7, v3
	v_add_co_ci_u32_e64 v4, null, v8, v4, vcc_lo
	global_load_dwordx2 v[3:4], v[3:4], off glc dlc
	s_waitcnt vmcnt(0)
	global_atomic_cmpswap_x2 v[8:9], v2, v[3:6], s[6:7] offset:24 glc
	s_waitcnt vmcnt(0)
	buffer_gl1_inv
	buffer_gl0_inv
	v_cmpx_ne_u64_e64 v[8:9], v[5:6]
	s_cbranch_execz .LBB7_882
; %bb.879:
	s_mov_b32 s9, 0
	.p2align	6
.LBB7_880:                              ; =>This Inner Loop Header: Depth=1
	s_sleep 1
	s_clause 0x1
	global_load_dwordx2 v[3:4], v2, s[6:7] offset:40
	global_load_dwordx2 v[10:11], v2, s[6:7]
	v_mov_b32_e32 v5, v8
	v_mov_b32_e32 v6, v9
	s_waitcnt vmcnt(1)
	v_and_b32_e32 v3, v3, v5
	v_and_b32_e32 v4, v4, v6
	s_waitcnt vmcnt(0)
	v_mad_u64_u32 v[7:8], null, v3, 24, v[10:11]
	v_mov_b32_e32 v3, v8
	v_mad_u64_u32 v[3:4], null, v4, 24, v[3:4]
	v_mov_b32_e32 v8, v3
	global_load_dwordx2 v[3:4], v[7:8], off glc dlc
	s_waitcnt vmcnt(0)
	global_atomic_cmpswap_x2 v[8:9], v2, v[3:6], s[6:7] offset:24 glc
	s_waitcnt vmcnt(0)
	buffer_gl1_inv
	buffer_gl0_inv
	v_cmp_eq_u64_e32 vcc_lo, v[8:9], v[5:6]
	s_or_b32 s9, vcc_lo, s9
	s_andn2_b32 exec_lo, exec_lo, s9
	s_cbranch_execnz .LBB7_880
; %bb.881:
	s_or_b32 exec_lo, exec_lo, s9
.LBB7_882:
	s_or_b32 exec_lo, exec_lo, s8
.LBB7_883:
	s_or_b32 exec_lo, exec_lo, s5
	v_mov_b32_e32 v2, 0
	v_readfirstlane_b32 s9, v9
	v_readfirstlane_b32 s8, v8
	s_mov_b32 s5, exec_lo
	s_clause 0x1
	global_load_dwordx2 v[10:11], v2, s[6:7] offset:40
	global_load_dwordx4 v[4:7], v2, s[6:7]
	s_waitcnt vmcnt(1)
	v_readfirstlane_b32 s10, v10
	v_readfirstlane_b32 s11, v11
	s_and_b64 s[10:11], s[10:11], s[8:9]
	s_mul_i32 s12, s11, 24
	s_mul_hi_u32 s13, s10, 24
	s_mul_i32 s14, s10, 24
	s_add_i32 s13, s13, s12
	s_waitcnt vmcnt(0)
	v_add_co_u32 v8, vcc_lo, v4, s14
	v_add_co_ci_u32_e64 v9, null, s13, v5, vcc_lo
	s_and_saveexec_b32 s12, s4
	s_cbranch_execz .LBB7_885
; %bb.884:
	v_mov_b32_e32 v10, s5
	v_mov_b32_e32 v11, v2
	;; [unrolled: 1-line block ×4, first 2 shown]
	global_store_dwordx4 v[8:9], v[10:13], off offset:8
.LBB7_885:
	s_or_b32 exec_lo, exec_lo, s12
	s_lshl_b64 s[10:11], s[10:11], 12
	s_mov_b32 s12, 0
	v_add_co_u32 v6, vcc_lo, v6, s10
	v_add_co_ci_u32_e64 v7, null, s11, v7, vcc_lo
	s_mov_b32 s13, s12
	s_mov_b32 s14, s12
	;; [unrolled: 1-line block ×3, first 2 shown]
	v_and_or_b32 v0, 0xffffff1d, v0, 34
	v_mov_b32_e32 v3, v2
	v_readfirstlane_b32 s10, v6
	v_readfirstlane_b32 s11, v7
	v_mov_b32_e32 v10, s12
	v_mov_b32_e32 v11, s13
	v_mov_b32_e32 v12, s14
	v_mov_b32_e32 v13, s15
	global_store_dwordx4 v28, v[0:3], s[10:11]
	global_store_dwordx4 v28, v[10:13], s[10:11] offset:16
	global_store_dwordx4 v28, v[10:13], s[10:11] offset:32
	;; [unrolled: 1-line block ×3, first 2 shown]
	s_and_saveexec_b32 s5, s4
	s_cbranch_execz .LBB7_893
; %bb.886:
	v_mov_b32_e32 v6, 0
	v_mov_b32_e32 v10, s8
	;; [unrolled: 1-line block ×3, first 2 shown]
	s_clause 0x1
	global_load_dwordx2 v[12:13], v6, s[6:7] offset:32 glc dlc
	global_load_dwordx2 v[0:1], v6, s[6:7] offset:40
	s_waitcnt vmcnt(0)
	v_readfirstlane_b32 s10, v0
	v_readfirstlane_b32 s11, v1
	s_and_b64 s[10:11], s[10:11], s[8:9]
	s_mul_i32 s11, s11, 24
	s_mul_hi_u32 s12, s10, 24
	s_mul_i32 s10, s10, 24
	s_add_i32 s12, s12, s11
	v_add_co_u32 v4, vcc_lo, v4, s10
	v_add_co_ci_u32_e64 v5, null, s12, v5, vcc_lo
	s_mov_b32 s10, exec_lo
	global_store_dwordx2 v[4:5], v[12:13], off
	s_waitcnt_vscnt null, 0x0
	global_atomic_cmpswap_x2 v[2:3], v6, v[10:13], s[6:7] offset:32 glc
	s_waitcnt vmcnt(0)
	v_cmpx_ne_u64_e64 v[2:3], v[12:13]
	s_cbranch_execz .LBB7_889
; %bb.887:
	s_mov_b32 s11, 0
.LBB7_888:                              ; =>This Inner Loop Header: Depth=1
	v_mov_b32_e32 v0, s8
	v_mov_b32_e32 v1, s9
	s_sleep 1
	global_store_dwordx2 v[4:5], v[2:3], off
	s_waitcnt_vscnt null, 0x0
	global_atomic_cmpswap_x2 v[0:1], v6, v[0:3], s[6:7] offset:32 glc
	s_waitcnt vmcnt(0)
	v_cmp_eq_u64_e32 vcc_lo, v[0:1], v[2:3]
	v_mov_b32_e32 v3, v1
	v_mov_b32_e32 v2, v0
	s_or_b32 s11, vcc_lo, s11
	s_andn2_b32 exec_lo, exec_lo, s11
	s_cbranch_execnz .LBB7_888
.LBB7_889:
	s_or_b32 exec_lo, exec_lo, s10
	v_mov_b32_e32 v3, 0
	s_mov_b32 s11, exec_lo
	s_mov_b32 s10, exec_lo
	v_mbcnt_lo_u32_b32 v2, s11, 0
	global_load_dwordx2 v[0:1], v3, s[6:7] offset:16
	v_cmpx_eq_u32_e32 0, v2
	s_cbranch_execz .LBB7_891
; %bb.890:
	s_bcnt1_i32_b32 s11, s11
	v_mov_b32_e32 v2, s11
	s_waitcnt vmcnt(0)
	global_atomic_add_x2 v[0:1], v[2:3], off offset:8
.LBB7_891:
	s_or_b32 exec_lo, exec_lo, s10
	s_waitcnt vmcnt(0)
	global_load_dwordx2 v[2:3], v[0:1], off offset:16
	s_waitcnt vmcnt(0)
	v_cmp_eq_u64_e32 vcc_lo, 0, v[2:3]
	s_cbranch_vccnz .LBB7_893
; %bb.892:
	global_load_dword v0, v[0:1], off offset:24
	v_mov_b32_e32 v1, 0
	s_waitcnt vmcnt(0)
	v_readfirstlane_b32 s10, v0
	s_waitcnt_vscnt null, 0x0
	global_store_dwordx2 v[2:3], v[0:1], off
	s_and_b32 m0, s10, 0x7fffff
	s_sendmsg sendmsg(MSG_INTERRUPT)
.LBB7_893:
	s_or_b32 exec_lo, exec_lo, s5
	s_branch .LBB7_897
	.p2align	6
.LBB7_894:                              ;   in Loop: Header=BB7_897 Depth=1
	s_or_b32 exec_lo, exec_lo, s5
	v_readfirstlane_b32 s5, v0
	s_cmp_eq_u32 s5, 0
	s_cbranch_scc1 .LBB7_896
; %bb.895:                              ;   in Loop: Header=BB7_897 Depth=1
	s_sleep 1
	s_cbranch_execnz .LBB7_897
	s_branch .LBB7_899
	.p2align	6
.LBB7_896:
	s_branch .LBB7_899
.LBB7_897:                              ; =>This Inner Loop Header: Depth=1
	v_mov_b32_e32 v0, 1
	s_and_saveexec_b32 s5, s4
	s_cbranch_execz .LBB7_894
; %bb.898:                              ;   in Loop: Header=BB7_897 Depth=1
	global_load_dword v0, v[8:9], off offset:20 glc dlc
	s_waitcnt vmcnt(0)
	buffer_gl1_inv
	buffer_gl0_inv
	v_and_b32_e32 v0, 1, v0
	s_branch .LBB7_894
.LBB7_899:
	s_and_saveexec_b32 s10, s4
	s_cbranch_execz .LBB7_903
; %bb.900:
	v_mov_b32_e32 v6, 0
	s_clause 0x2
	global_load_dwordx2 v[0:1], v6, s[6:7] offset:40
	global_load_dwordx2 v[9:10], v6, s[6:7] offset:24 glc dlc
	global_load_dwordx2 v[2:3], v6, s[6:7]
	s_waitcnt vmcnt(2)
	v_readfirstlane_b32 s12, v0
	v_readfirstlane_b32 s13, v1
	s_add_u32 s11, s12, 1
	s_addc_u32 s14, s13, 0
	s_add_u32 s4, s11, s8
	s_addc_u32 s5, s14, s9
	s_cmp_eq_u64 s[4:5], 0
	s_cselect_b32 s5, s14, s5
	s_cselect_b32 s4, s11, s4
	v_mov_b32_e32 v8, s5
	s_and_b64 s[8:9], s[4:5], s[12:13]
	v_mov_b32_e32 v7, s4
	s_mul_i32 s9, s9, 24
	s_mul_hi_u32 s11, s8, 24
	s_mul_i32 s8, s8, 24
	s_add_i32 s11, s11, s9
	s_waitcnt vmcnt(0)
	v_add_co_u32 v4, vcc_lo, v2, s8
	v_add_co_ci_u32_e64 v5, null, s11, v3, vcc_lo
	global_store_dwordx2 v[4:5], v[9:10], off
	s_waitcnt_vscnt null, 0x0
	global_atomic_cmpswap_x2 v[2:3], v6, v[7:10], s[6:7] offset:24 glc
	s_waitcnt vmcnt(0)
	v_cmp_ne_u64_e32 vcc_lo, v[2:3], v[9:10]
	s_and_b32 exec_lo, exec_lo, vcc_lo
	s_cbranch_execz .LBB7_903
; %bb.901:
	s_mov_b32 s8, 0
.LBB7_902:                              ; =>This Inner Loop Header: Depth=1
	v_mov_b32_e32 v0, s4
	v_mov_b32_e32 v1, s5
	s_sleep 1
	global_store_dwordx2 v[4:5], v[2:3], off
	s_waitcnt_vscnt null, 0x0
	global_atomic_cmpswap_x2 v[0:1], v6, v[0:3], s[6:7] offset:24 glc
	s_waitcnt vmcnt(0)
	v_cmp_eq_u64_e32 vcc_lo, v[0:1], v[2:3]
	v_mov_b32_e32 v3, v1
	v_mov_b32_e32 v2, v0
	s_or_b32 s8, vcc_lo, s8
	s_andn2_b32 exec_lo, exec_lo, s8
	s_cbranch_execnz .LBB7_902
.LBB7_903:
	s_or_b32 exec_lo, exec_lo, s10
.LBB7_904:
	s_add_u32 s8, s54, 0x80
	s_addc_u32 s9, s55, 0
	s_getpc_b64 s[4:5]
	s_add_u32 s4, s4, .str.29@rel32@lo+4
	s_addc_u32 s5, s5, .str.29@rel32@hi+12
	s_getpc_b64 s[6:7]
	s_add_u32 s6, s6, .str.19@rel32@lo+4
	s_addc_u32 s7, s7, .str.19@rel32@hi+12
	s_getpc_b64 s[10:11]
	s_add_u32 s10, s10, __PRETTY_FUNCTION__._ZN7VecsMemIjLi8192EE5fetchEi@rel32@lo+4
	s_addc_u32 s11, s11, __PRETTY_FUNCTION__._ZN7VecsMemIjLi8192EE5fetchEi@rel32@hi+12
	s_waitcnt vmcnt(0)
	v_mov_b32_e32 v0, s4
	v_mov_b32_e32 v1, s5
	;; [unrolled: 1-line block ×7, first 2 shown]
	s_getpc_b64 s[12:13]
	s_add_u32 s12, s12, __assert_fail@rel32@lo+4
	s_addc_u32 s13, s13, __assert_fail@rel32@hi+12
	s_swappc_b64 s[30:31], s[12:13]
	s_or_b32 s21, s21, exec_lo
	s_or_b32 exec_lo, exec_lo, s25
	s_and_saveexec_b32 s4, s23
	s_xor_b32 s23, exec_lo, s4
	s_cbranch_execz .LBB7_350
.LBB7_905:
	s_add_u32 s8, s54, 0x80
	s_addc_u32 s9, s55, 0
	s_getpc_b64 s[4:5]
	s_add_u32 s4, s4, .str.18@rel32@lo+4
	s_addc_u32 s5, s5, .str.18@rel32@hi+12
	s_getpc_b64 s[6:7]
	s_add_u32 s6, s6, .str.19@rel32@lo+4
	s_addc_u32 s7, s7, .str.19@rel32@hi+12
	s_getpc_b64 s[10:11]
	s_add_u32 s10, s10, __PRETTY_FUNCTION__._ZN7VecsMemIjLi8192EE6shrinkEi@rel32@lo+4
	s_addc_u32 s11, s11, __PRETTY_FUNCTION__._ZN7VecsMemIjLi8192EE6shrinkEi@rel32@hi+12
	v_mov_b32_e32 v0, s4
	v_mov_b32_e32 v1, s5
	;; [unrolled: 1-line block ×6, first 2 shown]
	s_waitcnt vmcnt(0)
	v_mov_b32_e32 v6, s11
	s_getpc_b64 s[12:13]
	s_add_u32 s12, s12, __assert_fail@rel32@lo+4
	s_addc_u32 s13, s13, __assert_fail@rel32@hi+12
	s_swappc_b64 s[30:31], s[12:13]
	s_or_b32 s21, s21, exec_lo
	s_or_b32 exec_lo, exec_lo, s23
	s_and_saveexec_b32 s23, s22
	s_cbranch_execz .LBB7_351
.LBB7_906:
	s_add_u32 s8, s54, 0x80
	s_addc_u32 s9, s55, 0
	s_getpc_b64 s[4:5]
	s_add_u32 s4, s4, .str.7@rel32@lo+4
	s_addc_u32 s5, s5, .str.7@rel32@hi+12
	s_getpc_b64 s[6:7]
	s_add_u32 s6, s6, .str.1@rel32@lo+4
	s_addc_u32 s7, s7, .str.1@rel32@hi+12
	s_getpc_b64 s[10:11]
	s_add_u32 s10, s10, __PRETTY_FUNCTION__._Z8resynCutPKiS0_S0_S0_PKyPKjiS0_PyPiS6_S6_PjS0_S4_ii@rel32@lo+4
	s_addc_u32 s11, s11, __PRETTY_FUNCTION__._Z8resynCutPKiS0_S0_S0_PKyPKjiS0_PyPiS6_S6_PjS0_S4_ii@rel32@hi+12
	v_mov_b32_e32 v0, s4
	v_mov_b32_e32 v1, s5
	;; [unrolled: 1-line block ×6, first 2 shown]
	s_waitcnt vmcnt(0)
	v_mov_b32_e32 v6, s11
	s_getpc_b64 s[12:13]
	s_add_u32 s12, s12, __assert_fail@rel32@lo+4
	s_addc_u32 s13, s13, __assert_fail@rel32@hi+12
	s_swappc_b64 s[30:31], s[12:13]
	s_or_b32 s21, s21, exec_lo
	s_or_b32 exec_lo, exec_lo, s23
	s_and_saveexec_b32 s4, s21
	s_cbranch_execz .LBB7_352
.LBB7_907:
	; divergent unreachable
	s_endpgm
	.section	.rodata,"a",@progbits
	.p2align	6, 0x0
	.amdhsa_kernel _Z8resynCutPKiS0_S0_S0_PKyPKjiS0_PyPiS6_S6_PjS0_S4_ii
		.amdhsa_group_segment_fixed_size 0
		.amdhsa_private_segment_fixed_size 41408
		.amdhsa_kernarg_size 384
		.amdhsa_user_sgpr_count 8
		.amdhsa_user_sgpr_private_segment_buffer 1
		.amdhsa_user_sgpr_dispatch_ptr 0
		.amdhsa_user_sgpr_queue_ptr 0
		.amdhsa_user_sgpr_kernarg_segment_ptr 1
		.amdhsa_user_sgpr_dispatch_id 0
		.amdhsa_user_sgpr_flat_scratch_init 1
		.amdhsa_user_sgpr_private_segment_size 0
		.amdhsa_wavefront_size32 1
		.amdhsa_uses_dynamic_stack 1
		.amdhsa_system_sgpr_private_segment_wavefront_offset 1
		.amdhsa_system_sgpr_workgroup_id_x 1
		.amdhsa_system_sgpr_workgroup_id_y 0
		.amdhsa_system_sgpr_workgroup_id_z 0
		.amdhsa_system_sgpr_workgroup_info 0
		.amdhsa_system_vgpr_workitem_id 0
		.amdhsa_next_free_vgpr 93
		.amdhsa_next_free_sgpr 105
		.amdhsa_reserve_vcc 1
		.amdhsa_reserve_flat_scratch 1
		.amdhsa_float_round_mode_32 0
		.amdhsa_float_round_mode_16_64 0
		.amdhsa_float_denorm_mode_32 3
		.amdhsa_float_denorm_mode_16_64 3
		.amdhsa_dx10_clamp 1
		.amdhsa_ieee_mode 1
		.amdhsa_fp16_overflow 0
		.amdhsa_workgroup_processor_mode 1
		.amdhsa_memory_ordered 1
		.amdhsa_forward_progress 1
		.amdhsa_shared_vgpr_count 0
		.amdhsa_exception_fp_ieee_invalid_op 0
		.amdhsa_exception_fp_denorm_src 0
		.amdhsa_exception_fp_ieee_div_zero 0
		.amdhsa_exception_fp_ieee_overflow 0
		.amdhsa_exception_fp_ieee_underflow 0
		.amdhsa_exception_fp_ieee_inexact 0
		.amdhsa_exception_int_div_zero 0
	.end_amdhsa_kernel
	.text
.Lfunc_end7:
	.size	_Z8resynCutPKiS0_S0_S0_PKyPKjiS0_PyPiS6_S6_PjS0_S4_ii, .Lfunc_end7-_Z8resynCutPKiS0_S0_S0_PKyPKjiS0_PyPiS6_S6_PjS0_S4_ii
                                        ; -- End function
	.set _Z8resynCutPKiS0_S0_S0_PKyPKjiS0_PyPiS6_S6_PjS0_S4_ii.num_vgpr, max(93, .L_ZN3sop13minatoIsopRecEPKjS1_iPNS_3SopEP7VecsMemIjLi8192EE.num_vgpr, .L_ZN3sop12sopFactorRecEPNS_3SopEiP7VecsMemIjLi8192EEPN8subgUtil4SubgILi256EEE.num_vgpr, .L__assert_fail.num_vgpr)
	.set _Z8resynCutPKiS0_S0_S0_PKyPKjiS0_PyPiS6_S6_PjS0_S4_ii.num_agpr, max(0, .L_ZN3sop13minatoIsopRecEPKjS1_iPNS_3SopEP7VecsMemIjLi8192EE.num_agpr, .L_ZN3sop12sopFactorRecEPNS_3SopEiP7VecsMemIjLi8192EEPN8subgUtil4SubgILi256EEE.num_agpr, .L__assert_fail.num_agpr)
	.set _Z8resynCutPKiS0_S0_S0_PKyPKjiS0_PyPiS6_S6_PjS0_S4_ii.numbered_sgpr, max(105, .L_ZN3sop13minatoIsopRecEPKjS1_iPNS_3SopEP7VecsMemIjLi8192EE.numbered_sgpr, .L_ZN3sop12sopFactorRecEPNS_3SopEiP7VecsMemIjLi8192EEPN8subgUtil4SubgILi256EEE.numbered_sgpr, .L__assert_fail.numbered_sgpr)
	.set _Z8resynCutPKiS0_S0_S0_PKyPKjiS0_PyPiS6_S6_PjS0_S4_ii.num_named_barrier, max(0, .L_ZN3sop13minatoIsopRecEPKjS1_iPNS_3SopEP7VecsMemIjLi8192EE.num_named_barrier, .L_ZN3sop12sopFactorRecEPNS_3SopEiP7VecsMemIjLi8192EEPN8subgUtil4SubgILi256EEE.num_named_barrier, .L__assert_fail.num_named_barrier)
	.set _Z8resynCutPKiS0_S0_S0_PKyPKjiS0_PyPiS6_S6_PjS0_S4_ii.private_seg_size, 41072+max(.L_ZN3sop13minatoIsopRecEPKjS1_iPNS_3SopEP7VecsMemIjLi8192EE.private_seg_size, .L_ZN3sop12sopFactorRecEPNS_3SopEiP7VecsMemIjLi8192EEPN8subgUtil4SubgILi256EEE.private_seg_size, .L__assert_fail.private_seg_size)
	.set _Z8resynCutPKiS0_S0_S0_PKyPKjiS0_PyPiS6_S6_PjS0_S4_ii.uses_vcc, or(1, .L_ZN3sop13minatoIsopRecEPKjS1_iPNS_3SopEP7VecsMemIjLi8192EE.uses_vcc, .L_ZN3sop12sopFactorRecEPNS_3SopEiP7VecsMemIjLi8192EEPN8subgUtil4SubgILi256EEE.uses_vcc, .L__assert_fail.uses_vcc)
	.set _Z8resynCutPKiS0_S0_S0_PKyPKjiS0_PyPiS6_S6_PjS0_S4_ii.uses_flat_scratch, or(1, .L_ZN3sop13minatoIsopRecEPKjS1_iPNS_3SopEP7VecsMemIjLi8192EE.uses_flat_scratch, .L_ZN3sop12sopFactorRecEPNS_3SopEiP7VecsMemIjLi8192EEPN8subgUtil4SubgILi256EEE.uses_flat_scratch, .L__assert_fail.uses_flat_scratch)
	.set _Z8resynCutPKiS0_S0_S0_PKyPKjiS0_PyPiS6_S6_PjS0_S4_ii.has_dyn_sized_stack, or(0, .L_ZN3sop13minatoIsopRecEPKjS1_iPNS_3SopEP7VecsMemIjLi8192EE.has_dyn_sized_stack, .L_ZN3sop12sopFactorRecEPNS_3SopEiP7VecsMemIjLi8192EEPN8subgUtil4SubgILi256EEE.has_dyn_sized_stack, .L__assert_fail.has_dyn_sized_stack)
	.set _Z8resynCutPKiS0_S0_S0_PKyPKjiS0_PyPiS6_S6_PjS0_S4_ii.has_recursion, or(1, .L_ZN3sop13minatoIsopRecEPKjS1_iPNS_3SopEP7VecsMemIjLi8192EE.has_recursion, .L_ZN3sop12sopFactorRecEPNS_3SopEiP7VecsMemIjLi8192EEPN8subgUtil4SubgILi256EEE.has_recursion, .L__assert_fail.has_recursion)
	.set _Z8resynCutPKiS0_S0_S0_PKyPKjiS0_PyPiS6_S6_PjS0_S4_ii.has_indirect_call, or(0, .L_ZN3sop13minatoIsopRecEPKjS1_iPNS_3SopEP7VecsMemIjLi8192EE.has_indirect_call, .L_ZN3sop12sopFactorRecEPNS_3SopEiP7VecsMemIjLi8192EEPN8subgUtil4SubgILi256EEE.has_indirect_call, .L__assert_fail.has_indirect_call)
	.section	.AMDGPU.csdata,"",@progbits
; Kernel info:
; codeLenInByte = 44056
; TotalNumSgprs: 107
; NumVgprs: 93
; ScratchSize: 41408
; MemoryBound: 0
; FloatMode: 240
; IeeeMode: 1
; LDSByteSize: 0 bytes/workgroup (compile time only)
; SGPRBlocks: 0
; VGPRBlocks: 11
; NumSGPRsForWavesPerEU: 107
; NumVGPRsForWavesPerEU: 93
; Occupancy: 10
; WaveLimiterHint : 1
; COMPUTE_PGM_RSRC2:SCRATCH_EN: 1
; COMPUTE_PGM_RSRC2:USER_SGPR: 8
; COMPUTE_PGM_RSRC2:TRAP_HANDLER: 0
; COMPUTE_PGM_RSRC2:TGID_X_EN: 1
; COMPUTE_PGM_RSRC2:TGID_Y_EN: 0
; COMPUTE_PGM_RSRC2:TGID_Z_EN: 0
; COMPUTE_PGM_RSRC2:TIDIG_COMP_CNT: 0
	.text
	.protected	_Z15factorFromTruthPKiS0_PyPiS2_S2_PKjS4_S0_S4_i ; -- Begin function _Z15factorFromTruthPKiS0_PyPiS2_S2_PKjS4_S0_S4_i
	.globl	_Z15factorFromTruthPKiS0_PyPiS2_S2_PKjS4_S0_S4_i
	.p2align	8
	.type	_Z15factorFromTruthPKiS0_PyPiS2_S2_PKjS4_S0_S4_i,@function
_Z15factorFromTruthPKiS0_PyPiS2_S2_PKjS4_S0_S4_i: ; @_Z15factorFromTruthPKiS0_PyPiS2_S2_PKjS4_S0_S4_i
; %bb.0:
	s_add_u32 s6, s6, s9
	s_mov_b32 s32, 0x110e00
	s_addc_u32 s7, s7, 0
	s_setreg_b32 hwreg(HW_REG_FLAT_SCR_LO), s6
	s_setreg_b32 hwreg(HW_REG_FLAT_SCR_HI), s7
	s_mov_b64 s[84:85], s[4:5]
	s_load_dword s4, s[4:5], 0x64
	s_load_dword s102, s[84:85], 0x50
	s_add_u32 s0, s0, s9
	s_addc_u32 s1, s1, 0
	s_add_u32 s98, s84, 0x58
	s_addc_u32 s99, s85, 0
	v_mov_b32_e32 v60, 0
	s_mov_b32 s5, -1
	s_mov_b32 s24, 0
	s_mov_b32 s22, 0
	;; [unrolled: 1-line block ×3, first 2 shown]
	s_waitcnt lgkmcnt(0)
	s_and_b32 s4, s4, 0xffff
	v_mad_u64_u32 v[0:1], null, s8, s4, v[0:1]
	s_lshl_b32 s4, s102, 1
	v_mov_b32_e32 v1, 0x8020
	buffer_store_dword v60, v1, s[0:3], 0 offen
	v_cmp_gt_i32_e32 vcc_lo, s4, v0
	s_mov_b32 s4, 0
	s_and_saveexec_b32 s87, vcc_lo
	s_cbranch_execz .LBB8_406
; %bb.1:
	s_load_dwordx16 s[36:51], s[84:85], 0x0
	v_cmp_le_i32_e64 s83, s102, v0
	v_mov_b32_e32 v1, 0
	v_cmp_gt_i32_e64 s22, s102, v0
	v_mov_b32_e32 v2, 0
	v_cndmask_b32_e64 v3, 0, s102, s83
	v_sub_nc_u32_e32 v62, v0, v3
	v_cmp_ne_u32_e32 vcc_lo, v0, v3
	s_and_saveexec_b32 s5, vcc_lo
	s_cbranch_execz .LBB8_3
; %bb.2:
	v_ashrrev_i32_e32 v63, 31, v62
	v_lshlrev_b64 v[0:1], 2, v[62:63]
	s_waitcnt lgkmcnt(0)
	v_add_co_u32 v0, s4, s38, v0
	v_add_co_ci_u32_e64 v1, null, s39, v1, s4
	global_load_dword v60, v[0:1], off offset:-4
	v_mov_b32_e32 v1, v62
	v_mov_b32_e32 v2, v63
.LBB8_3:
	s_or_b32 exec_lo, exec_lo, s5
	v_lshlrev_b64 v[1:2], 2, v[1:2]
	v_mov_b32_e32 v0, 0
	s_waitcnt lgkmcnt(0)
	v_add_co_u32 v3, s4, s38, v1
	v_add_co_ci_u32_e64 v4, null, s39, v2, s4
	s_load_dwordx2 s[4:5], s[84:85], 0x40
	global_load_dword v43, v[3:4], off
	s_and_saveexec_b32 s6, vcc_lo
	s_cbranch_execz .LBB8_5
; %bb.4:
	s_waitcnt lgkmcnt(0)
	v_add_co_u32 v3, vcc_lo, s4, v1
	v_add_co_ci_u32_e64 v4, null, s5, v2, vcc_lo
	global_load_dword v0, v[3:4], off offset:-4
.LBB8_5:
	s_or_b32 exec_lo, exec_lo, s6
	s_waitcnt lgkmcnt(0)
	v_add_co_u32 v1, vcc_lo, s4, v1
	v_add_co_ci_u32_e64 v2, null, s5, v2, vcc_lo
	s_waitcnt vmcnt(0)
	v_sub_nc_u32_e32 v41, v43, v60
	s_mov_b32 s23, 0
	s_mov_b32 s100, 0
	global_load_dword v1, v[1:2], off
	s_mov_b32 s4, exec_lo
	v_add_nc_u32_e32 v2, -5, v41
	v_cmp_lt_i32_e32 vcc_lo, 5, v41
	v_lshlrev_b32_e64 v2, v2, 1
	s_waitcnt vmcnt(0)
	v_sub_nc_u32_e32 v72, v1, v0
	v_cndmask_b32_e32 v1, 1, v2, vcc_lo
	v_cmpx_ne_u32_e64 v72, v1
	s_xor_b32 s21, exec_lo, s4
	s_cbranch_execz .LBB8_7
; %bb.6:
	s_add_u32 s8, s84, 0x58
	s_addc_u32 s9, s85, 0
	s_getpc_b64 s[4:5]
	s_add_u32 s4, s4, .str.12@rel32@lo+4
	s_addc_u32 s5, s5, .str.12@rel32@hi+12
	s_getpc_b64 s[6:7]
	s_add_u32 s6, s6, .str.1@rel32@lo+4
	s_addc_u32 s7, s7, .str.1@rel32@hi+12
	s_getpc_b64 s[10:11]
	s_add_u32 s10, s10, __PRETTY_FUNCTION__._Z15factorFromTruthPKiS0_PyPiS2_S2_PKjS4_S0_S4_i@rel32@lo+4
	s_addc_u32 s11, s11, __PRETTY_FUNCTION__._Z15factorFromTruthPKiS0_PyPiS2_S2_PKjS4_S0_S4_i@rel32@hi+12
	v_mov_b32_e32 v0, s4
	v_mov_b32_e32 v1, s5
	;; [unrolled: 1-line block ×7, first 2 shown]
	s_getpc_b64 s[12:13]
	s_add_u32 s12, s12, __assert_fail@rel32@lo+4
	s_addc_u32 s13, s13, __assert_fail@rel32@hi+12
	s_swappc_b64 s[30:31], s[12:13]
	s_mov_b32 s100, exec_lo
                                        ; implicit-def: $vgpr72
                                        ; implicit-def: $vgpr41
                                        ; implicit-def: $vgpr0
                                        ; implicit-def: $vgpr62
                                        ; implicit-def: $vgpr60
                                        ; implicit-def: $vgpr43
.LBB8_7:
	s_or_saveexec_b32 s101, s21
	s_mov_b32 s5, 0
	s_mov_b32 s7, 0
	;; [unrolled: 1-line block ×3, first 2 shown]
	s_xor_b32 exec_lo, exec_lo, s101
	s_cbranch_execz .LBB8_405
; %bb.8:
	v_ashrrev_i32_e32 v1, 31, v0
	v_mov_b32_e32 v2, s50
	v_mov_b32_e32 v3, s51
	s_mov_b64 s[96:97], src_private_base
	v_mov_b32_e32 v73, 0
	v_lshlrev_b64 v[0:1], 2, v[0:1]
	v_cndmask_b32_e64 v2, s48, v2, s83
	v_cndmask_b32_e64 v3, s49, v3, s83
	v_mov_b32_e32 v4, v41
	v_mov_b32_e32 v5, 8
	;; [unrolled: 1-line block ×3, first 2 shown]
	v_add_co_u32 v40, vcc_lo, v2, v0
	v_add_co_ci_u32_e64 v42, null, v3, v1, vcc_lo
	v_mov_b32_e32 v7, 24
	v_mov_b32_e32 v0, v40
	;; [unrolled: 1-line block ×6, first 2 shown]
	s_add_u32 s8, s84, 0x58
	s_addc_u32 s9, s85, 0
	s_getpc_b64 s[4:5]
	s_add_u32 s4, s4, _ZN3sop13minatoIsopRecEPKjS1_iPNS_3SopEP7VecsMemIjLi8192EE@rel32@lo+4
	s_addc_u32 s5, s5, _ZN3sop13minatoIsopRecEPKjS1_iPNS_3SopEP7VecsMemIjLi8192EE@rel32@hi+12
                                        ; implicit-def: $vgpr45 : SGPR spill to VGPR lane
	buffer_store_dword v73, off, s[0:3], 0 offset:24
	v_writelane_b32 v45, s22, 0
	s_swappc_b64 s[30:31], s[4:5]
	s_mov_b32 s5, 0
                                        ; implicit-def: $sgpr4
                                        ; implicit-def: $sgpr7
                                        ; implicit-def: $sgpr6
	s_inst_prefetch 0x1
	s_branch .LBB8_10
	.p2align	6
.LBB8_9:                                ;   in Loop: Header=BB8_10 Depth=1
	s_or_b32 exec_lo, exec_lo, s8
	s_xor_b32 s8, s6, -1
	s_and_b32 s9, exec_lo, s7
	s_or_b32 s5, s9, s5
	s_andn2_b32 s4, s4, exec_lo
	s_and_b32 s8, s8, exec_lo
	s_or_b32 s4, s4, s8
	s_andn2_b32 exec_lo, exec_lo, s5
	s_cbranch_execz .LBB8_12
.LBB8_10:                               ; =>This Inner Loop Header: Depth=1
	s_or_b32 s6, s6, exec_lo
	s_or_b32 s7, s7, exec_lo
	s_mov_b32 s8, exec_lo
	v_cmpx_lt_i32_e32 0, v72
	s_cbranch_execz .LBB8_9
; %bb.11:                               ;   in Loop: Header=BB8_10 Depth=1
	v_add_nc_u32_e32 v72, -1, v72
	s_andn2_b32 s7, s7, exec_lo
	s_andn2_b32 s6, s6, exec_lo
	v_lshlrev_b64 v[2:3], 2, v[72:73]
	v_add_co_u32 v4, vcc_lo, v40, v2
	v_add_co_ci_u32_e64 v5, null, v42, v3, vcc_lo
	v_add_co_u32 v2, vcc_lo, v0, v2
	v_add_co_ci_u32_e64 v3, null, v1, v3, vcc_lo
	global_load_dword v4, v[4:5], off
	flat_load_dword v2, v[2:3]
	s_waitcnt vmcnt(0) lgkmcnt(0)
	v_cmp_ne_u32_e32 vcc_lo, v4, v2
	s_and_b32 s9, vcc_lo, exec_lo
	s_or_b32 s7, s7, s9
	s_branch .LBB8_9
.LBB8_12:
	s_inst_prefetch 0x2
	s_or_b32 exec_lo, exec_lo, s5
	s_mov_b32 s54, s100
	s_and_saveexec_b32 s5, s4
	s_xor_b32 s21, exec_lo, s5
	s_cbranch_execz .LBB8_14
; %bb.13:
	s_add_u32 s8, s84, 0x58
	s_addc_u32 s9, s85, 0
	s_getpc_b64 s[4:5]
	s_add_u32 s4, s4, .str.15@rel32@lo+4
	s_addc_u32 s5, s5, .str.15@rel32@hi+12
	s_getpc_b64 s[6:7]
	s_add_u32 s6, s6, .str.16@rel32@lo+4
	s_addc_u32 s7, s7, .str.16@rel32@hi+12
	s_getpc_b64 s[10:11]
	s_add_u32 s10, s10, __PRETTY_FUNCTION__._ZN3sop10minatoIsopEPKjiP7VecsMemIjLi8192EE@rel32@lo+4
	s_addc_u32 s11, s11, __PRETTY_FUNCTION__._ZN3sop10minatoIsopEPKjiP7VecsMemIjLi8192EE@rel32@hi+12
	v_mov_b32_e32 v0, s4
	v_mov_b32_e32 v1, s5
	;; [unrolled: 1-line block ×7, first 2 shown]
	s_getpc_b64 s[12:13]
	s_add_u32 s12, s12, __assert_fail@rel32@lo+4
	s_addc_u32 s13, s13, __assert_fail@rel32@hi+12
	s_swappc_b64 s[30:31], s[12:13]
	s_or_b32 s54, s100, exec_lo
                                        ; implicit-def: $vgpr62
                                        ; implicit-def: $vgpr41
                                        ; implicit-def: $vgpr60
                                        ; implicit-def: $vgpr43
.LBB8_14:
	s_or_saveexec_b32 s52, s21
	s_load_dwordx16 s[36:51], s[84:85], 0x0
	s_mov_b32 s4, 0
	s_mov_b32 s6, 0
	;; [unrolled: 1-line block ×4, first 2 shown]
	s_xor_b32 exec_lo, exec_lo, s52
	s_cbranch_execz .LBB8_404
; %bb.15:
	buffer_load_dword v42, off, s[0:3], 0 offset:12
	s_mov_b32 s21, 0
	s_mov_b32 s4, exec_lo
	s_waitcnt vmcnt(0)
	v_cmpx_lt_i32_e32 0, v42
	s_xor_b32 s5, exec_lo, s4
	s_cbranch_execz .LBB8_19
; %bb.16:
	s_mov_b32 s4, -1
	s_mov_b32 s6, exec_lo
	v_cmpx_eq_u32_e32 1, v42
	s_cbranch_execz .LBB8_18
; %bb.17:
	s_clause 0x1
	buffer_load_dword v0, off, s[0:3], 0 offset:16
	buffer_load_dword v1, off, s[0:3], 0 offset:20
	s_waitcnt vmcnt(0)
	flat_load_dword v0, v[0:1]
	s_waitcnt vmcnt(0) lgkmcnt(0)
	v_cmp_eq_u32_e32 vcc_lo, 0, v0
	v_cmp_ne_u32_e64 s4, 0, v0
	s_and_b32 s7, vcc_lo, exec_lo
	s_orn2_b32 s4, s4, exec_lo
.LBB8_18:
	s_or_b32 exec_lo, exec_lo, s6
	s_and_b32 s21, s7, exec_lo
	s_and_b32 s6, s4, exec_lo
.LBB8_19:
	s_andn2_saveexec_b32 s4, s5
; %bb.20:
	v_cmp_ne_u32_e32 vcc_lo, 0, v42
	s_andn2_b32 s5, s6, exec_lo
	s_or_b32 s21, s21, exec_lo
	s_and_b32 s6, vcc_lo, exec_lo
	s_or_b32 s6, s5, s6
; %bb.21:
	s_or_b32 exec_lo, exec_lo, s4
	s_mov_b32 s34, 0
	s_mov_b32 s4, 0
	s_waitcnt lgkmcnt(0)
	s_mov_b32 s39, s54
	s_and_saveexec_b32 s22, s6
	s_cbranch_execz .LBB8_176
; %bb.22:
	v_mov_b32_e32 v44, -1
	s_mov_b32 s23, 0
	s_mov_b32 s4, -1
	s_mov_b32 s26, s54
	s_mov_b32 s24, exec_lo
	v_cmpx_lt_i32_e32 0, v42
	s_cbranch_execz .LBB8_162
; %bb.23:
	buffer_load_dword v1, off, s[0:3], 0 offset:24
	v_mov_b32_e32 v44, -1
	s_mov_b32 s25, 0
	s_mov_b32 s4, exec_lo
	s_waitcnt vmcnt(0)
	v_add_nc_u32_e32 v0, v1, v42
	v_cmpx_gt_i32_e32 0x2001, v0
	s_xor_b32 s4, exec_lo, s4
	s_cbranch_execz .LBB8_25
; %bb.24:
	v_lshlrev_b32_e32 v1, 2, v1
	s_mov_b32 s25, exec_lo
	buffer_store_dword v0, off, s[0:3], 0 offset:24
	v_add3_u32 v44, 24, v1, 4
.LBB8_25:
	s_or_saveexec_b32 s26, s4
	s_mov_b32 s4, s54
	s_xor_b32 exec_lo, exec_lo, s26
	s_cbranch_execz .LBB8_161
; %bb.26:
	s_load_dwordx2 s[6:7], s[98:99], 0x50
	v_mbcnt_lo_u32_b32 v29, -1, 0
	v_mov_b32_e32 v6, 0
	v_mov_b32_e32 v7, 0
	v_readfirstlane_b32 s4, v29
	v_cmp_eq_u32_e64 s4, s4, v29
	s_and_saveexec_b32 s5, s4
	s_cbranch_execz .LBB8_32
; %bb.27:
	v_mov_b32_e32 v0, 0
	s_mov_b32 s8, exec_lo
	s_waitcnt lgkmcnt(0)
	global_load_dwordx2 v[3:4], v0, s[6:7] offset:24 glc dlc
	s_waitcnt vmcnt(0)
	buffer_gl1_inv
	buffer_gl0_inv
	s_clause 0x1
	global_load_dwordx2 v[1:2], v0, s[6:7] offset:40
	global_load_dwordx2 v[5:6], v0, s[6:7]
	s_waitcnt vmcnt(1)
	v_and_b32_e32 v2, v2, v4
	v_and_b32_e32 v1, v1, v3
	v_mul_lo_u32 v2, v2, 24
	v_mul_hi_u32 v7, v1, 24
	v_mul_lo_u32 v1, v1, 24
	v_add_nc_u32_e32 v2, v7, v2
	s_waitcnt vmcnt(0)
	v_add_co_u32 v1, vcc_lo, v5, v1
	v_add_co_ci_u32_e64 v2, null, v6, v2, vcc_lo
	global_load_dwordx2 v[1:2], v[1:2], off glc dlc
	s_waitcnt vmcnt(0)
	global_atomic_cmpswap_x2 v[6:7], v0, v[1:4], s[6:7] offset:24 glc
	s_waitcnt vmcnt(0)
	buffer_gl1_inv
	buffer_gl0_inv
	v_cmpx_ne_u64_e64 v[6:7], v[3:4]
	s_cbranch_execz .LBB8_31
; %bb.28:
	s_mov_b32 s9, 0
.LBB8_29:                               ; =>This Inner Loop Header: Depth=1
	s_sleep 1
	s_clause 0x1
	global_load_dwordx2 v[1:2], v0, s[6:7] offset:40
	global_load_dwordx2 v[8:9], v0, s[6:7]
	v_mov_b32_e32 v3, v6
	v_mov_b32_e32 v4, v7
	s_waitcnt vmcnt(1)
	v_and_b32_e32 v1, v1, v3
	v_and_b32_e32 v2, v2, v4
	s_waitcnt vmcnt(0)
	v_mad_u64_u32 v[5:6], null, v1, 24, v[8:9]
	v_mov_b32_e32 v1, v6
	v_mad_u64_u32 v[1:2], null, v2, 24, v[1:2]
	v_mov_b32_e32 v6, v1
	global_load_dwordx2 v[1:2], v[5:6], off glc dlc
	s_waitcnt vmcnt(0)
	global_atomic_cmpswap_x2 v[6:7], v0, v[1:4], s[6:7] offset:24 glc
	s_waitcnt vmcnt(0)
	buffer_gl1_inv
	buffer_gl0_inv
	v_cmp_eq_u64_e32 vcc_lo, v[6:7], v[3:4]
	s_or_b32 s9, vcc_lo, s9
	s_andn2_b32 exec_lo, exec_lo, s9
	s_cbranch_execnz .LBB8_29
; %bb.30:
	s_or_b32 exec_lo, exec_lo, s9
.LBB8_31:
	s_or_b32 exec_lo, exec_lo, s8
.LBB8_32:
	s_or_b32 exec_lo, exec_lo, s5
	v_mov_b32_e32 v5, 0
	v_readfirstlane_b32 s9, v7
	v_readfirstlane_b32 s8, v6
	s_mov_b32 s5, exec_lo
	s_waitcnt lgkmcnt(0)
	s_clause 0x1
	global_load_dwordx2 v[8:9], v5, s[6:7] offset:40
	global_load_dwordx4 v[0:3], v5, s[6:7]
	s_waitcnt vmcnt(1)
	v_readfirstlane_b32 s10, v8
	v_readfirstlane_b32 s11, v9
	s_and_b64 s[10:11], s[10:11], s[8:9]
	s_mul_i32 s12, s11, 24
	s_mul_hi_u32 s13, s10, 24
	s_mul_i32 s14, s10, 24
	s_add_i32 s13, s13, s12
	s_waitcnt vmcnt(0)
	v_add_co_u32 v8, vcc_lo, v0, s14
	v_add_co_ci_u32_e64 v9, null, s13, v1, vcc_lo
	s_and_saveexec_b32 s12, s4
	s_cbranch_execz .LBB8_34
; %bb.33:
	v_mov_b32_e32 v4, s5
	v_mov_b32_e32 v6, 2
	;; [unrolled: 1-line block ×3, first 2 shown]
	global_store_dwordx4 v[8:9], v[4:7], off offset:8
.LBB8_34:
	s_or_b32 exec_lo, exec_lo, s12
	s_lshl_b64 s[10:11], s[10:11], 12
	v_lshlrev_b32_e32 v28, 6, v29
	v_add_co_u32 v2, vcc_lo, v2, s10
	v_add_co_ci_u32_e64 v3, null, s11, v3, vcc_lo
	s_mov_b32 s12, 0
	v_add_co_u32 v10, vcc_lo, v2, v28
	s_mov_b32 s13, s12
	s_mov_b32 s14, s12
	s_mov_b32 s15, s12
	v_mov_b32_e32 v4, 33
	v_mov_b32_e32 v6, v5
	;; [unrolled: 1-line block ×3, first 2 shown]
	v_readfirstlane_b32 s10, v2
	v_readfirstlane_b32 s11, v3
	v_mov_b32_e32 v12, s12
	v_add_co_ci_u32_e64 v11, null, 0, v3, vcc_lo
	v_mov_b32_e32 v13, s13
	v_mov_b32_e32 v14, s14
	;; [unrolled: 1-line block ×3, first 2 shown]
	global_store_dwordx4 v28, v[4:7], s[10:11]
	global_store_dwordx4 v28, v[12:15], s[10:11] offset:16
	global_store_dwordx4 v28, v[12:15], s[10:11] offset:32
	;; [unrolled: 1-line block ×3, first 2 shown]
	s_and_saveexec_b32 s5, s4
	s_cbranch_execz .LBB8_42
; %bb.35:
	v_mov_b32_e32 v6, 0
	v_mov_b32_e32 v12, s8
	;; [unrolled: 1-line block ×3, first 2 shown]
	s_mov_b32 s10, exec_lo
	s_clause 0x1
	global_load_dwordx2 v[14:15], v6, s[6:7] offset:32 glc dlc
	global_load_dwordx2 v[2:3], v6, s[6:7] offset:40
	s_waitcnt vmcnt(0)
	v_and_b32_e32 v3, s9, v3
	v_and_b32_e32 v2, s8, v2
	v_mul_lo_u32 v3, v3, 24
	v_mul_hi_u32 v4, v2, 24
	v_mul_lo_u32 v2, v2, 24
	v_add_nc_u32_e32 v3, v4, v3
	v_add_co_u32 v4, vcc_lo, v0, v2
	v_add_co_ci_u32_e64 v5, null, v1, v3, vcc_lo
	global_store_dwordx2 v[4:5], v[14:15], off
	s_waitcnt_vscnt null, 0x0
	global_atomic_cmpswap_x2 v[2:3], v6, v[12:15], s[6:7] offset:32 glc
	s_waitcnt vmcnt(0)
	v_cmpx_ne_u64_e64 v[2:3], v[14:15]
	s_cbranch_execz .LBB8_38
; %bb.36:
	s_mov_b32 s11, 0
.LBB8_37:                               ; =>This Inner Loop Header: Depth=1
	v_mov_b32_e32 v0, s8
	v_mov_b32_e32 v1, s9
	s_sleep 1
	global_store_dwordx2 v[4:5], v[2:3], off
	s_waitcnt_vscnt null, 0x0
	global_atomic_cmpswap_x2 v[0:1], v6, v[0:3], s[6:7] offset:32 glc
	s_waitcnt vmcnt(0)
	v_cmp_eq_u64_e32 vcc_lo, v[0:1], v[2:3]
	v_mov_b32_e32 v3, v1
	v_mov_b32_e32 v2, v0
	s_or_b32 s11, vcc_lo, s11
	s_andn2_b32 exec_lo, exec_lo, s11
	s_cbranch_execnz .LBB8_37
.LBB8_38:
	s_or_b32 exec_lo, exec_lo, s10
	v_mov_b32_e32 v3, 0
	s_mov_b32 s11, exec_lo
	s_mov_b32 s10, exec_lo
	v_mbcnt_lo_u32_b32 v2, s11, 0
	global_load_dwordx2 v[0:1], v3, s[6:7] offset:16
	v_cmpx_eq_u32_e32 0, v2
	s_cbranch_execz .LBB8_40
; %bb.39:
	s_bcnt1_i32_b32 s11, s11
	v_mov_b32_e32 v2, s11
	s_waitcnt vmcnt(0)
	global_atomic_add_x2 v[0:1], v[2:3], off offset:8
.LBB8_40:
	s_or_b32 exec_lo, exec_lo, s10
	s_waitcnt vmcnt(0)
	global_load_dwordx2 v[2:3], v[0:1], off offset:16
	s_waitcnt vmcnt(0)
	v_cmp_eq_u64_e32 vcc_lo, 0, v[2:3]
	s_cbranch_vccnz .LBB8_42
; %bb.41:
	global_load_dword v0, v[0:1], off offset:24
	v_mov_b32_e32 v1, 0
	s_waitcnt vmcnt(0)
	v_readfirstlane_b32 s10, v0
	s_waitcnt_vscnt null, 0x0
	global_store_dwordx2 v[2:3], v[0:1], off
	s_and_b32 m0, s10, 0x7fffff
	s_sendmsg sendmsg(MSG_INTERRUPT)
.LBB8_42:
	s_or_b32 exec_lo, exec_lo, s5
	s_branch .LBB8_46
	.p2align	6
.LBB8_43:                               ;   in Loop: Header=BB8_46 Depth=1
	s_or_b32 exec_lo, exec_lo, s5
	v_readfirstlane_b32 s5, v0
	s_cmp_eq_u32 s5, 0
	s_cbranch_scc1 .LBB8_45
; %bb.44:                               ;   in Loop: Header=BB8_46 Depth=1
	s_sleep 1
	s_cbranch_execnz .LBB8_46
	s_branch .LBB8_48
.LBB8_45:
	s_branch .LBB8_48
.LBB8_46:                               ; =>This Inner Loop Header: Depth=1
	v_mov_b32_e32 v0, 1
	s_and_saveexec_b32 s5, s4
	s_cbranch_execz .LBB8_43
; %bb.47:                               ;   in Loop: Header=BB8_46 Depth=1
	global_load_dword v0, v[8:9], off offset:20 glc dlc
	s_waitcnt vmcnt(0)
	buffer_gl1_inv
	buffer_gl0_inv
	v_and_b32_e32 v0, 1, v0
	s_branch .LBB8_43
.LBB8_48:
	global_load_dwordx2 v[0:1], v[10:11], off
	s_and_saveexec_b32 s10, s4
	s_cbranch_execz .LBB8_52
; %bb.49:
	v_mov_b32_e32 v8, 0
	s_clause 0x2
	global_load_dwordx2 v[2:3], v8, s[6:7] offset:40
	global_load_dwordx2 v[11:12], v8, s[6:7] offset:24 glc dlc
	global_load_dwordx2 v[4:5], v8, s[6:7]
	s_waitcnt vmcnt(2)
	v_readfirstlane_b32 s12, v2
	v_readfirstlane_b32 s13, v3
	s_add_u32 s11, s12, 1
	s_addc_u32 s14, s13, 0
	s_add_u32 s4, s11, s8
	s_addc_u32 s5, s14, s9
	s_cmp_eq_u64 s[4:5], 0
	s_cselect_b32 s5, s14, s5
	s_cselect_b32 s4, s11, s4
	v_mov_b32_e32 v10, s5
	s_and_b64 s[8:9], s[4:5], s[12:13]
	v_mov_b32_e32 v9, s4
	s_mul_i32 s9, s9, 24
	s_mul_hi_u32 s11, s8, 24
	s_mul_i32 s8, s8, 24
	s_add_i32 s11, s11, s9
	s_waitcnt vmcnt(0)
	v_add_co_u32 v6, vcc_lo, v4, s8
	v_add_co_ci_u32_e64 v7, null, s11, v5, vcc_lo
	global_store_dwordx2 v[6:7], v[11:12], off
	s_waitcnt_vscnt null, 0x0
	global_atomic_cmpswap_x2 v[4:5], v8, v[9:12], s[6:7] offset:24 glc
	s_waitcnt vmcnt(0)
	v_cmp_ne_u64_e32 vcc_lo, v[4:5], v[11:12]
	s_and_b32 exec_lo, exec_lo, vcc_lo
	s_cbranch_execz .LBB8_52
; %bb.50:
	s_mov_b32 s8, 0
.LBB8_51:                               ; =>This Inner Loop Header: Depth=1
	v_mov_b32_e32 v2, s4
	v_mov_b32_e32 v3, s5
	s_sleep 1
	global_store_dwordx2 v[6:7], v[4:5], off
	s_waitcnt_vscnt null, 0x0
	global_atomic_cmpswap_x2 v[2:3], v8, v[2:5], s[6:7] offset:24 glc
	s_waitcnt vmcnt(0)
	v_cmp_eq_u64_e32 vcc_lo, v[2:3], v[4:5]
	v_mov_b32_e32 v5, v3
	v_mov_b32_e32 v4, v2
	s_or_b32 s8, vcc_lo, s8
	s_andn2_b32 exec_lo, exec_lo, s8
	s_cbranch_execnz .LBB8_51
.LBB8_52:
	s_or_b32 exec_lo, exec_lo, s10
	s_getpc_b64 s[8:9]
	s_add_u32 s8, s8, .str.28@rel32@lo+4
	s_addc_u32 s9, s9, .str.28@rel32@hi+12
	s_cmp_lg_u64 s[8:9], 0
	s_cbranch_scc0 .LBB8_131
; %bb.53:
	s_waitcnt vmcnt(0)
	v_and_b32_e32 v6, -3, v0
	v_mov_b32_e32 v7, v1
	v_mov_b32_e32 v3, 0
	;; [unrolled: 1-line block ×4, first 2 shown]
	s_mov_b64 s[10:11], 35
	s_branch .LBB8_55
.LBB8_54:                               ;   in Loop: Header=BB8_55 Depth=1
	s_or_b32 exec_lo, exec_lo, s16
	s_sub_u32 s10, s10, s12
	s_subb_u32 s11, s11, s13
	s_add_u32 s8, s8, s12
	s_addc_u32 s9, s9, s13
	s_cmp_lg_u64 s[10:11], 0
	s_cbranch_scc0 .LBB8_130
.LBB8_55:                               ; =>This Loop Header: Depth=1
                                        ;     Child Loop BB8_58 Depth 2
                                        ;     Child Loop BB8_65 Depth 2
	;; [unrolled: 1-line block ×11, first 2 shown]
	v_cmp_lt_u64_e64 s4, s[10:11], 56
	v_cmp_gt_u64_e64 s14, s[10:11], 7
	s_and_b32 s4, s4, exec_lo
	s_cselect_b32 s13, s11, 0
	s_cselect_b32 s12, s10, 56
	s_add_u32 s4, s8, 8
	s_addc_u32 s5, s9, 0
	s_and_b32 vcc_lo, exec_lo, s14
	s_cbranch_vccnz .LBB8_60
; %bb.56:                               ;   in Loop: Header=BB8_55 Depth=1
	s_waitcnt vmcnt(0)
	v_mov_b32_e32 v8, 0
	v_mov_b32_e32 v9, 0
	s_cmp_eq_u64 s[10:11], 0
	s_cbranch_scc1 .LBB8_59
; %bb.57:                               ;   in Loop: Header=BB8_55 Depth=1
	s_lshl_b64 s[4:5], s[12:13], 3
	s_mov_b64 s[14:15], 0
	s_mov_b64 s[16:17], s[8:9]
.LBB8_58:                               ;   Parent Loop BB8_55 Depth=1
                                        ; =>  This Inner Loop Header: Depth=2
	global_load_ubyte v2, v3, s[16:17]
	s_waitcnt vmcnt(0)
	v_and_b32_e32 v2, 0xffff, v2
	v_lshlrev_b64 v[10:11], s14, v[2:3]
	s_add_u32 s14, s14, 8
	s_addc_u32 s15, s15, 0
	s_add_u32 s16, s16, 1
	s_addc_u32 s17, s17, 0
	s_cmp_lg_u32 s4, s14
	v_or_b32_e32 v8, v10, v8
	v_or_b32_e32 v9, v11, v9
	s_cbranch_scc1 .LBB8_58
.LBB8_59:                               ;   in Loop: Header=BB8_55 Depth=1
	s_mov_b64 s[4:5], s[8:9]
	s_mov_b32 s18, 0
	s_cbranch_execz .LBB8_61
	s_branch .LBB8_62
.LBB8_60:                               ;   in Loop: Header=BB8_55 Depth=1
	s_mov_b32 s18, 0
.LBB8_61:                               ;   in Loop: Header=BB8_55 Depth=1
	global_load_dwordx2 v[8:9], v3, s[8:9]
	s_add_i32 s18, s12, -8
.LBB8_62:                               ;   in Loop: Header=BB8_55 Depth=1
	s_add_u32 s14, s4, 8
	s_addc_u32 s15, s5, 0
	s_cmp_gt_u32 s18, 7
	s_cbranch_scc1 .LBB8_67
; %bb.63:                               ;   in Loop: Header=BB8_55 Depth=1
	v_mov_b32_e32 v10, 0
	v_mov_b32_e32 v11, 0
	s_cmp_eq_u32 s18, 0
	s_cbranch_scc1 .LBB8_66
; %bb.64:                               ;   in Loop: Header=BB8_55 Depth=1
	s_mov_b64 s[14:15], 0
	s_mov_b64 s[16:17], 0
.LBB8_65:                               ;   Parent Loop BB8_55 Depth=1
                                        ; =>  This Inner Loop Header: Depth=2
	s_add_u32 s28, s4, s16
	s_addc_u32 s29, s5, s17
	s_add_u32 s16, s16, 1
	global_load_ubyte v2, v3, s[28:29]
	s_addc_u32 s17, s17, 0
	s_waitcnt vmcnt(0)
	v_and_b32_e32 v2, 0xffff, v2
	v_lshlrev_b64 v[12:13], s14, v[2:3]
	s_add_u32 s14, s14, 8
	s_addc_u32 s15, s15, 0
	s_cmp_lg_u32 s18, s16
	v_or_b32_e32 v10, v12, v10
	v_or_b32_e32 v11, v13, v11
	s_cbranch_scc1 .LBB8_65
.LBB8_66:                               ;   in Loop: Header=BB8_55 Depth=1
	s_mov_b64 s[14:15], s[4:5]
	s_mov_b32 s19, 0
	s_cbranch_execz .LBB8_68
	s_branch .LBB8_69
.LBB8_67:                               ;   in Loop: Header=BB8_55 Depth=1
                                        ; implicit-def: $vgpr10_vgpr11
	s_mov_b32 s19, 0
.LBB8_68:                               ;   in Loop: Header=BB8_55 Depth=1
	global_load_dwordx2 v[10:11], v3, s[4:5]
	s_add_i32 s19, s18, -8
.LBB8_69:                               ;   in Loop: Header=BB8_55 Depth=1
	s_add_u32 s4, s14, 8
	s_addc_u32 s5, s15, 0
	s_cmp_gt_u32 s19, 7
	s_cbranch_scc1 .LBB8_74
; %bb.70:                               ;   in Loop: Header=BB8_55 Depth=1
	v_mov_b32_e32 v12, 0
	v_mov_b32_e32 v13, 0
	s_cmp_eq_u32 s19, 0
	s_cbranch_scc1 .LBB8_73
; %bb.71:                               ;   in Loop: Header=BB8_55 Depth=1
	s_mov_b64 s[4:5], 0
	s_mov_b64 s[16:17], 0
.LBB8_72:                               ;   Parent Loop BB8_55 Depth=1
                                        ; =>  This Inner Loop Header: Depth=2
	s_add_u32 s28, s14, s16
	s_addc_u32 s29, s15, s17
	s_add_u32 s16, s16, 1
	global_load_ubyte v2, v3, s[28:29]
	s_addc_u32 s17, s17, 0
	s_waitcnt vmcnt(0)
	v_and_b32_e32 v2, 0xffff, v2
	v_lshlrev_b64 v[14:15], s4, v[2:3]
	s_add_u32 s4, s4, 8
	s_addc_u32 s5, s5, 0
	s_cmp_lg_u32 s19, s16
	v_or_b32_e32 v12, v14, v12
	v_or_b32_e32 v13, v15, v13
	s_cbranch_scc1 .LBB8_72
.LBB8_73:                               ;   in Loop: Header=BB8_55 Depth=1
	s_mov_b64 s[4:5], s[14:15]
	s_mov_b32 s18, 0
	s_cbranch_execz .LBB8_75
	s_branch .LBB8_76
.LBB8_74:                               ;   in Loop: Header=BB8_55 Depth=1
	s_mov_b32 s18, 0
.LBB8_75:                               ;   in Loop: Header=BB8_55 Depth=1
	global_load_dwordx2 v[12:13], v3, s[14:15]
	s_add_i32 s18, s19, -8
.LBB8_76:                               ;   in Loop: Header=BB8_55 Depth=1
	s_add_u32 s14, s4, 8
	s_addc_u32 s15, s5, 0
	s_cmp_gt_u32 s18, 7
	s_cbranch_scc1 .LBB8_81
; %bb.77:                               ;   in Loop: Header=BB8_55 Depth=1
	v_mov_b32_e32 v14, 0
	v_mov_b32_e32 v15, 0
	s_cmp_eq_u32 s18, 0
	s_cbranch_scc1 .LBB8_80
; %bb.78:                               ;   in Loop: Header=BB8_55 Depth=1
	s_mov_b64 s[14:15], 0
	s_mov_b64 s[16:17], 0
.LBB8_79:                               ;   Parent Loop BB8_55 Depth=1
                                        ; =>  This Inner Loop Header: Depth=2
	s_add_u32 s28, s4, s16
	s_addc_u32 s29, s5, s17
	s_add_u32 s16, s16, 1
	global_load_ubyte v2, v3, s[28:29]
	s_addc_u32 s17, s17, 0
	s_waitcnt vmcnt(0)
	v_and_b32_e32 v2, 0xffff, v2
	v_lshlrev_b64 v[16:17], s14, v[2:3]
	s_add_u32 s14, s14, 8
	s_addc_u32 s15, s15, 0
	s_cmp_lg_u32 s18, s16
	v_or_b32_e32 v14, v16, v14
	v_or_b32_e32 v15, v17, v15
	s_cbranch_scc1 .LBB8_79
.LBB8_80:                               ;   in Loop: Header=BB8_55 Depth=1
	s_mov_b64 s[14:15], s[4:5]
	s_mov_b32 s19, 0
	s_cbranch_execz .LBB8_82
	s_branch .LBB8_83
.LBB8_81:                               ;   in Loop: Header=BB8_55 Depth=1
                                        ; implicit-def: $vgpr14_vgpr15
	s_mov_b32 s19, 0
.LBB8_82:                               ;   in Loop: Header=BB8_55 Depth=1
	global_load_dwordx2 v[14:15], v3, s[4:5]
	s_add_i32 s19, s18, -8
.LBB8_83:                               ;   in Loop: Header=BB8_55 Depth=1
	s_add_u32 s4, s14, 8
	s_addc_u32 s5, s15, 0
	s_cmp_gt_u32 s19, 7
	s_cbranch_scc1 .LBB8_88
; %bb.84:                               ;   in Loop: Header=BB8_55 Depth=1
	v_mov_b32_e32 v16, 0
	v_mov_b32_e32 v17, 0
	s_cmp_eq_u32 s19, 0
	s_cbranch_scc1 .LBB8_87
; %bb.85:                               ;   in Loop: Header=BB8_55 Depth=1
	s_mov_b64 s[4:5], 0
	s_mov_b64 s[16:17], 0
.LBB8_86:                               ;   Parent Loop BB8_55 Depth=1
                                        ; =>  This Inner Loop Header: Depth=2
	s_add_u32 s28, s14, s16
	s_addc_u32 s29, s15, s17
	s_add_u32 s16, s16, 1
	global_load_ubyte v2, v3, s[28:29]
	s_addc_u32 s17, s17, 0
	s_waitcnt vmcnt(0)
	v_and_b32_e32 v2, 0xffff, v2
	v_lshlrev_b64 v[18:19], s4, v[2:3]
	s_add_u32 s4, s4, 8
	s_addc_u32 s5, s5, 0
	s_cmp_lg_u32 s19, s16
	v_or_b32_e32 v16, v18, v16
	v_or_b32_e32 v17, v19, v17
	s_cbranch_scc1 .LBB8_86
.LBB8_87:                               ;   in Loop: Header=BB8_55 Depth=1
	s_mov_b64 s[4:5], s[14:15]
	s_mov_b32 s18, 0
	s_cbranch_execz .LBB8_89
	s_branch .LBB8_90
.LBB8_88:                               ;   in Loop: Header=BB8_55 Depth=1
	s_mov_b32 s18, 0
.LBB8_89:                               ;   in Loop: Header=BB8_55 Depth=1
	global_load_dwordx2 v[16:17], v3, s[14:15]
	s_add_i32 s18, s19, -8
.LBB8_90:                               ;   in Loop: Header=BB8_55 Depth=1
	s_add_u32 s14, s4, 8
	s_addc_u32 s15, s5, 0
	s_cmp_gt_u32 s18, 7
	s_cbranch_scc1 .LBB8_95
; %bb.91:                               ;   in Loop: Header=BB8_55 Depth=1
	v_mov_b32_e32 v18, 0
	v_mov_b32_e32 v19, 0
	s_cmp_eq_u32 s18, 0
	s_cbranch_scc1 .LBB8_94
; %bb.92:                               ;   in Loop: Header=BB8_55 Depth=1
	s_mov_b64 s[14:15], 0
	s_mov_b64 s[16:17], 0
.LBB8_93:                               ;   Parent Loop BB8_55 Depth=1
                                        ; =>  This Inner Loop Header: Depth=2
	s_add_u32 s28, s4, s16
	s_addc_u32 s29, s5, s17
	s_add_u32 s16, s16, 1
	global_load_ubyte v2, v3, s[28:29]
	s_addc_u32 s17, s17, 0
	s_waitcnt vmcnt(0)
	v_and_b32_e32 v2, 0xffff, v2
	v_lshlrev_b64 v[20:21], s14, v[2:3]
	s_add_u32 s14, s14, 8
	s_addc_u32 s15, s15, 0
	s_cmp_lg_u32 s18, s16
	v_or_b32_e32 v18, v20, v18
	v_or_b32_e32 v19, v21, v19
	s_cbranch_scc1 .LBB8_93
.LBB8_94:                               ;   in Loop: Header=BB8_55 Depth=1
	s_mov_b64 s[14:15], s[4:5]
	s_mov_b32 s19, 0
	s_cbranch_execz .LBB8_96
	s_branch .LBB8_97
.LBB8_95:                               ;   in Loop: Header=BB8_55 Depth=1
                                        ; implicit-def: $vgpr18_vgpr19
	s_mov_b32 s19, 0
.LBB8_96:                               ;   in Loop: Header=BB8_55 Depth=1
	global_load_dwordx2 v[18:19], v3, s[4:5]
	s_add_i32 s19, s18, -8
.LBB8_97:                               ;   in Loop: Header=BB8_55 Depth=1
	s_cmp_gt_u32 s19, 7
	s_cbranch_scc1 .LBB8_102
; %bb.98:                               ;   in Loop: Header=BB8_55 Depth=1
	v_mov_b32_e32 v20, 0
	v_mov_b32_e32 v21, 0
	s_cmp_eq_u32 s19, 0
	s_cbranch_scc1 .LBB8_101
; %bb.99:                               ;   in Loop: Header=BB8_55 Depth=1
	s_mov_b64 s[4:5], 0
	s_mov_b64 s[16:17], s[14:15]
.LBB8_100:                              ;   Parent Loop BB8_55 Depth=1
                                        ; =>  This Inner Loop Header: Depth=2
	global_load_ubyte v2, v3, s[16:17]
	s_add_i32 s19, s19, -1
	s_waitcnt vmcnt(0)
	v_and_b32_e32 v2, 0xffff, v2
	v_lshlrev_b64 v[22:23], s4, v[2:3]
	s_add_u32 s4, s4, 8
	s_addc_u32 s5, s5, 0
	s_add_u32 s16, s16, 1
	s_addc_u32 s17, s17, 0
	s_cmp_lg_u32 s19, 0
	v_or_b32_e32 v20, v22, v20
	v_or_b32_e32 v21, v23, v21
	s_cbranch_scc1 .LBB8_100
.LBB8_101:                              ;   in Loop: Header=BB8_55 Depth=1
	s_cbranch_execz .LBB8_103
	s_branch .LBB8_104
.LBB8_102:                              ;   in Loop: Header=BB8_55 Depth=1
.LBB8_103:                              ;   in Loop: Header=BB8_55 Depth=1
	global_load_dwordx2 v[20:21], v3, s[14:15]
.LBB8_104:                              ;   in Loop: Header=BB8_55 Depth=1
	v_readfirstlane_b32 s4, v29
	v_mov_b32_e32 v26, 0
	v_mov_b32_e32 v27, 0
	v_cmp_eq_u32_e64 s4, s4, v29
	s_and_saveexec_b32 s5, s4
	s_cbranch_execz .LBB8_110
; %bb.105:                              ;   in Loop: Header=BB8_55 Depth=1
	global_load_dwordx2 v[24:25], v3, s[6:7] offset:24 glc dlc
	s_waitcnt vmcnt(0)
	buffer_gl1_inv
	buffer_gl0_inv
	s_clause 0x1
	global_load_dwordx2 v[22:23], v3, s[6:7] offset:40
	global_load_dwordx2 v[26:27], v3, s[6:7]
	s_mov_b32 s14, exec_lo
	s_waitcnt vmcnt(1)
	v_and_b32_e32 v2, v23, v25
	v_and_b32_e32 v22, v22, v24
	v_mul_lo_u32 v2, v2, 24
	v_mul_hi_u32 v23, v22, 24
	v_mul_lo_u32 v22, v22, 24
	v_add_nc_u32_e32 v2, v23, v2
	s_waitcnt vmcnt(0)
	v_add_co_u32 v22, vcc_lo, v26, v22
	v_add_co_ci_u32_e64 v23, null, v27, v2, vcc_lo
	global_load_dwordx2 v[22:23], v[22:23], off glc dlc
	s_waitcnt vmcnt(0)
	global_atomic_cmpswap_x2 v[26:27], v3, v[22:25], s[6:7] offset:24 glc
	s_waitcnt vmcnt(0)
	buffer_gl1_inv
	buffer_gl0_inv
	v_cmpx_ne_u64_e64 v[26:27], v[24:25]
	s_cbranch_execz .LBB8_109
; %bb.106:                              ;   in Loop: Header=BB8_55 Depth=1
	s_mov_b32 s15, 0
	.p2align	6
.LBB8_107:                              ;   Parent Loop BB8_55 Depth=1
                                        ; =>  This Inner Loop Header: Depth=2
	s_sleep 1
	s_clause 0x1
	global_load_dwordx2 v[22:23], v3, s[6:7] offset:40
	global_load_dwordx2 v[30:31], v3, s[6:7]
	v_mov_b32_e32 v24, v26
	v_mov_b32_e32 v25, v27
	s_waitcnt vmcnt(1)
	v_and_b32_e32 v2, v22, v24
	v_and_b32_e32 v22, v23, v25
	s_waitcnt vmcnt(0)
	v_mad_u64_u32 v[26:27], null, v2, 24, v[30:31]
	v_mov_b32_e32 v2, v27
	v_mad_u64_u32 v[22:23], null, v22, 24, v[2:3]
	v_mov_b32_e32 v27, v22
	global_load_dwordx2 v[22:23], v[26:27], off glc dlc
	s_waitcnt vmcnt(0)
	global_atomic_cmpswap_x2 v[26:27], v3, v[22:25], s[6:7] offset:24 glc
	s_waitcnt vmcnt(0)
	buffer_gl1_inv
	buffer_gl0_inv
	v_cmp_eq_u64_e32 vcc_lo, v[26:27], v[24:25]
	s_or_b32 s15, vcc_lo, s15
	s_andn2_b32 exec_lo, exec_lo, s15
	s_cbranch_execnz .LBB8_107
; %bb.108:                              ;   in Loop: Header=BB8_55 Depth=1
	s_or_b32 exec_lo, exec_lo, s15
.LBB8_109:                              ;   in Loop: Header=BB8_55 Depth=1
	s_or_b32 exec_lo, exec_lo, s14
.LBB8_110:                              ;   in Loop: Header=BB8_55 Depth=1
	s_or_b32 exec_lo, exec_lo, s5
	s_clause 0x1
	global_load_dwordx2 v[30:31], v3, s[6:7] offset:40
	global_load_dwordx4 v[22:25], v3, s[6:7]
	v_readfirstlane_b32 s15, v27
	v_readfirstlane_b32 s14, v26
	s_mov_b32 s5, exec_lo
	s_waitcnt vmcnt(1)
	v_readfirstlane_b32 s16, v30
	v_readfirstlane_b32 s17, v31
	s_and_b64 s[16:17], s[16:17], s[14:15]
	s_mul_i32 s18, s17, 24
	s_mul_hi_u32 s19, s16, 24
	s_mul_i32 s20, s16, 24
	s_add_i32 s19, s19, s18
	s_waitcnt vmcnt(0)
	v_add_co_u32 v26, vcc_lo, v22, s20
	v_add_co_ci_u32_e64 v27, null, s19, v23, vcc_lo
	s_and_saveexec_b32 s18, s4
	s_cbranch_execz .LBB8_112
; %bb.111:                              ;   in Loop: Header=BB8_55 Depth=1
	v_mov_b32_e32 v2, s5
	global_store_dwordx4 v[26:27], v[2:5], off offset:8
.LBB8_112:                              ;   in Loop: Header=BB8_55 Depth=1
	s_or_b32 exec_lo, exec_lo, s18
	v_cmp_gt_u64_e64 s5, s[10:11], 56
	s_lshl_b64 s[16:17], s[16:17], 12
	v_and_b32_e32 v2, 0xffffff1f, v6
	v_add_co_u32 v24, vcc_lo, v24, s16
	v_add_co_ci_u32_e64 v25, null, s17, v25, vcc_lo
	s_and_b32 s5, s5, exec_lo
	s_cselect_b32 s5, 0, 2
	s_lshl_b32 s18, s12, 2
	v_or_b32_e32 v2, s5, v2
	v_readfirstlane_b32 s16, v24
	v_readfirstlane_b32 s17, v25
	s_add_i32 s18, s18, 28
	v_and_or_b32 v6, 0x1e0, s18, v2
	global_store_dwordx4 v28, v[10:13], s[16:17] offset:16
	global_store_dwordx4 v28, v[14:17], s[16:17] offset:32
	global_store_dwordx4 v28, v[6:9], s[16:17]
	global_store_dwordx4 v28, v[18:21], s[16:17] offset:48
	s_and_saveexec_b32 s5, s4
	s_cbranch_execz .LBB8_120
; %bb.113:                              ;   in Loop: Header=BB8_55 Depth=1
	s_clause 0x1
	global_load_dwordx2 v[14:15], v3, s[6:7] offset:32 glc dlc
	global_load_dwordx2 v[6:7], v3, s[6:7] offset:40
	v_mov_b32_e32 v12, s14
	v_mov_b32_e32 v13, s15
	s_waitcnt vmcnt(0)
	v_readfirstlane_b32 s16, v6
	v_readfirstlane_b32 s17, v7
	s_and_b64 s[16:17], s[16:17], s[14:15]
	s_mul_i32 s17, s17, 24
	s_mul_hi_u32 s18, s16, 24
	s_mul_i32 s16, s16, 24
	s_add_i32 s18, s18, s17
	v_add_co_u32 v10, vcc_lo, v22, s16
	v_add_co_ci_u32_e64 v11, null, s18, v23, vcc_lo
	s_mov_b32 s16, exec_lo
	global_store_dwordx2 v[10:11], v[14:15], off
	s_waitcnt_vscnt null, 0x0
	global_atomic_cmpswap_x2 v[8:9], v3, v[12:15], s[6:7] offset:32 glc
	s_waitcnt vmcnt(0)
	v_cmpx_ne_u64_e64 v[8:9], v[14:15]
	s_cbranch_execz .LBB8_116
; %bb.114:                              ;   in Loop: Header=BB8_55 Depth=1
	s_mov_b32 s17, 0
.LBB8_115:                              ;   Parent Loop BB8_55 Depth=1
                                        ; =>  This Inner Loop Header: Depth=2
	v_mov_b32_e32 v6, s14
	v_mov_b32_e32 v7, s15
	s_sleep 1
	global_store_dwordx2 v[10:11], v[8:9], off
	s_waitcnt_vscnt null, 0x0
	global_atomic_cmpswap_x2 v[6:7], v3, v[6:9], s[6:7] offset:32 glc
	s_waitcnt vmcnt(0)
	v_cmp_eq_u64_e32 vcc_lo, v[6:7], v[8:9]
	v_mov_b32_e32 v9, v7
	v_mov_b32_e32 v8, v6
	s_or_b32 s17, vcc_lo, s17
	s_andn2_b32 exec_lo, exec_lo, s17
	s_cbranch_execnz .LBB8_115
.LBB8_116:                              ;   in Loop: Header=BB8_55 Depth=1
	s_or_b32 exec_lo, exec_lo, s16
	global_load_dwordx2 v[6:7], v3, s[6:7] offset:16
	s_mov_b32 s17, exec_lo
	s_mov_b32 s16, exec_lo
	v_mbcnt_lo_u32_b32 v2, s17, 0
	v_cmpx_eq_u32_e32 0, v2
	s_cbranch_execz .LBB8_118
; %bb.117:                              ;   in Loop: Header=BB8_55 Depth=1
	s_bcnt1_i32_b32 s17, s17
	v_mov_b32_e32 v2, s17
	s_waitcnt vmcnt(0)
	global_atomic_add_x2 v[6:7], v[2:3], off offset:8
.LBB8_118:                              ;   in Loop: Header=BB8_55 Depth=1
	s_or_b32 exec_lo, exec_lo, s16
	s_waitcnt vmcnt(0)
	global_load_dwordx2 v[8:9], v[6:7], off offset:16
	s_waitcnt vmcnt(0)
	v_cmp_eq_u64_e32 vcc_lo, 0, v[8:9]
	s_cbranch_vccnz .LBB8_120
; %bb.119:                              ;   in Loop: Header=BB8_55 Depth=1
	global_load_dword v2, v[6:7], off offset:24
	s_waitcnt vmcnt(0)
	v_readfirstlane_b32 s16, v2
	s_waitcnt_vscnt null, 0x0
	global_store_dwordx2 v[8:9], v[2:3], off
	s_and_b32 m0, s16, 0x7fffff
	s_sendmsg sendmsg(MSG_INTERRUPT)
.LBB8_120:                              ;   in Loop: Header=BB8_55 Depth=1
	s_or_b32 exec_lo, exec_lo, s5
	v_add_co_u32 v6, vcc_lo, v24, v28
	v_add_co_ci_u32_e64 v7, null, 0, v25, vcc_lo
	s_branch .LBB8_124
	.p2align	6
.LBB8_121:                              ;   in Loop: Header=BB8_124 Depth=2
	s_or_b32 exec_lo, exec_lo, s5
	v_readfirstlane_b32 s5, v2
	s_cmp_eq_u32 s5, 0
	s_cbranch_scc1 .LBB8_123
; %bb.122:                              ;   in Loop: Header=BB8_124 Depth=2
	s_sleep 1
	s_cbranch_execnz .LBB8_124
	s_branch .LBB8_126
	.p2align	6
.LBB8_123:                              ;   in Loop: Header=BB8_55 Depth=1
	s_branch .LBB8_126
.LBB8_124:                              ;   Parent Loop BB8_55 Depth=1
                                        ; =>  This Inner Loop Header: Depth=2
	v_mov_b32_e32 v2, 1
	s_and_saveexec_b32 s5, s4
	s_cbranch_execz .LBB8_121
; %bb.125:                              ;   in Loop: Header=BB8_124 Depth=2
	global_load_dword v2, v[26:27], off offset:20 glc dlc
	s_waitcnt vmcnt(0)
	buffer_gl1_inv
	buffer_gl0_inv
	v_and_b32_e32 v2, 1, v2
	s_branch .LBB8_121
.LBB8_126:                              ;   in Loop: Header=BB8_55 Depth=1
	global_load_dwordx4 v[6:9], v[6:7], off
	s_and_saveexec_b32 s16, s4
	s_cbranch_execz .LBB8_54
; %bb.127:                              ;   in Loop: Header=BB8_55 Depth=1
	s_clause 0x2
	global_load_dwordx2 v[8:9], v3, s[6:7] offset:40
	global_load_dwordx2 v[16:17], v3, s[6:7] offset:24 glc dlc
	global_load_dwordx2 v[10:11], v3, s[6:7]
	s_waitcnt vmcnt(2)
	v_readfirstlane_b32 s18, v8
	v_readfirstlane_b32 s19, v9
	s_add_u32 s17, s18, 1
	s_addc_u32 s20, s19, 0
	s_add_u32 s4, s17, s14
	s_addc_u32 s5, s20, s15
	s_cmp_eq_u64 s[4:5], 0
	s_cselect_b32 s5, s20, s5
	s_cselect_b32 s4, s17, s4
	v_mov_b32_e32 v15, s5
	s_and_b64 s[14:15], s[4:5], s[18:19]
	v_mov_b32_e32 v14, s4
	s_mul_i32 s15, s15, 24
	s_mul_hi_u32 s17, s14, 24
	s_mul_i32 s14, s14, 24
	s_add_i32 s17, s17, s15
	s_waitcnt vmcnt(0)
	v_add_co_u32 v12, vcc_lo, v10, s14
	v_add_co_ci_u32_e64 v13, null, s17, v11, vcc_lo
	global_store_dwordx2 v[12:13], v[16:17], off
	s_waitcnt_vscnt null, 0x0
	global_atomic_cmpswap_x2 v[10:11], v3, v[14:17], s[6:7] offset:24 glc
	s_waitcnt vmcnt(0)
	v_cmp_ne_u64_e32 vcc_lo, v[10:11], v[16:17]
	s_and_b32 exec_lo, exec_lo, vcc_lo
	s_cbranch_execz .LBB8_54
; %bb.128:                              ;   in Loop: Header=BB8_55 Depth=1
	s_mov_b32 s14, 0
.LBB8_129:                              ;   Parent Loop BB8_55 Depth=1
                                        ; =>  This Inner Loop Header: Depth=2
	v_mov_b32_e32 v8, s4
	v_mov_b32_e32 v9, s5
	s_sleep 1
	global_store_dwordx2 v[12:13], v[10:11], off
	s_waitcnt_vscnt null, 0x0
	global_atomic_cmpswap_x2 v[8:9], v3, v[8:11], s[6:7] offset:24 glc
	s_waitcnt vmcnt(0)
	v_cmp_eq_u64_e32 vcc_lo, v[8:9], v[10:11]
	v_mov_b32_e32 v11, v9
	v_mov_b32_e32 v10, v8
	s_or_b32 s14, vcc_lo, s14
	s_andn2_b32 exec_lo, exec_lo, s14
	s_cbranch_execnz .LBB8_129
	s_branch .LBB8_54
.LBB8_130:
	s_mov_b32 s4, 0
	s_branch .LBB8_132
.LBB8_131:
	s_mov_b32 s4, -1
.LBB8_132:
	s_and_b32 vcc_lo, exec_lo, s4
	s_cbranch_vccz .LBB8_160
; %bb.133:
	v_readfirstlane_b32 s4, v29
	s_waitcnt vmcnt(0)
	v_mov_b32_e32 v8, 0
	v_mov_b32_e32 v9, 0
	v_cmp_eq_u32_e64 s4, s4, v29
	s_and_saveexec_b32 s5, s4
	s_cbranch_execz .LBB8_139
; %bb.134:
	v_mov_b32_e32 v2, 0
	s_mov_b32 s8, exec_lo
	global_load_dwordx2 v[5:6], v2, s[6:7] offset:24 glc dlc
	s_waitcnt vmcnt(0)
	buffer_gl1_inv
	buffer_gl0_inv
	s_clause 0x1
	global_load_dwordx2 v[3:4], v2, s[6:7] offset:40
	global_load_dwordx2 v[7:8], v2, s[6:7]
	s_waitcnt vmcnt(1)
	v_and_b32_e32 v4, v4, v6
	v_and_b32_e32 v3, v3, v5
	v_mul_lo_u32 v4, v4, 24
	v_mul_hi_u32 v9, v3, 24
	v_mul_lo_u32 v3, v3, 24
	v_add_nc_u32_e32 v4, v9, v4
	s_waitcnt vmcnt(0)
	v_add_co_u32 v3, vcc_lo, v7, v3
	v_add_co_ci_u32_e64 v4, null, v8, v4, vcc_lo
	global_load_dwordx2 v[3:4], v[3:4], off glc dlc
	s_waitcnt vmcnt(0)
	global_atomic_cmpswap_x2 v[8:9], v2, v[3:6], s[6:7] offset:24 glc
	s_waitcnt vmcnt(0)
	buffer_gl1_inv
	buffer_gl0_inv
	v_cmpx_ne_u64_e64 v[8:9], v[5:6]
	s_cbranch_execz .LBB8_138
; %bb.135:
	s_mov_b32 s9, 0
.LBB8_136:                              ; =>This Inner Loop Header: Depth=1
	s_sleep 1
	s_clause 0x1
	global_load_dwordx2 v[3:4], v2, s[6:7] offset:40
	global_load_dwordx2 v[10:11], v2, s[6:7]
	v_mov_b32_e32 v5, v8
	v_mov_b32_e32 v6, v9
	s_waitcnt vmcnt(1)
	v_and_b32_e32 v3, v3, v5
	v_and_b32_e32 v4, v4, v6
	s_waitcnt vmcnt(0)
	v_mad_u64_u32 v[7:8], null, v3, 24, v[10:11]
	v_mov_b32_e32 v3, v8
	v_mad_u64_u32 v[3:4], null, v4, 24, v[3:4]
	v_mov_b32_e32 v8, v3
	global_load_dwordx2 v[3:4], v[7:8], off glc dlc
	s_waitcnt vmcnt(0)
	global_atomic_cmpswap_x2 v[8:9], v2, v[3:6], s[6:7] offset:24 glc
	s_waitcnt vmcnt(0)
	buffer_gl1_inv
	buffer_gl0_inv
	v_cmp_eq_u64_e32 vcc_lo, v[8:9], v[5:6]
	s_or_b32 s9, vcc_lo, s9
	s_andn2_b32 exec_lo, exec_lo, s9
	s_cbranch_execnz .LBB8_136
; %bb.137:
	s_or_b32 exec_lo, exec_lo, s9
.LBB8_138:
	s_or_b32 exec_lo, exec_lo, s8
.LBB8_139:
	s_or_b32 exec_lo, exec_lo, s5
	v_mov_b32_e32 v2, 0
	v_readfirstlane_b32 s9, v9
	v_readfirstlane_b32 s8, v8
	s_mov_b32 s5, exec_lo
	s_clause 0x1
	global_load_dwordx2 v[10:11], v2, s[6:7] offset:40
	global_load_dwordx4 v[4:7], v2, s[6:7]
	s_waitcnt vmcnt(1)
	v_readfirstlane_b32 s10, v10
	v_readfirstlane_b32 s11, v11
	s_and_b64 s[10:11], s[10:11], s[8:9]
	s_mul_i32 s12, s11, 24
	s_mul_hi_u32 s13, s10, 24
	s_mul_i32 s14, s10, 24
	s_add_i32 s13, s13, s12
	s_waitcnt vmcnt(0)
	v_add_co_u32 v8, vcc_lo, v4, s14
	v_add_co_ci_u32_e64 v9, null, s13, v5, vcc_lo
	s_and_saveexec_b32 s12, s4
	s_cbranch_execz .LBB8_141
; %bb.140:
	v_mov_b32_e32 v10, s5
	v_mov_b32_e32 v11, v2
	;; [unrolled: 1-line block ×4, first 2 shown]
	global_store_dwordx4 v[8:9], v[10:13], off offset:8
.LBB8_141:
	s_or_b32 exec_lo, exec_lo, s12
	s_lshl_b64 s[10:11], s[10:11], 12
	s_mov_b32 s12, 0
	v_add_co_u32 v6, vcc_lo, v6, s10
	v_add_co_ci_u32_e64 v7, null, s11, v7, vcc_lo
	s_mov_b32 s13, s12
	s_mov_b32 s14, s12
	;; [unrolled: 1-line block ×3, first 2 shown]
	v_and_or_b32 v0, 0xffffff1d, v0, 34
	v_mov_b32_e32 v3, v2
	v_readfirstlane_b32 s10, v6
	v_readfirstlane_b32 s11, v7
	v_mov_b32_e32 v10, s12
	v_mov_b32_e32 v11, s13
	;; [unrolled: 1-line block ×4, first 2 shown]
	global_store_dwordx4 v28, v[0:3], s[10:11]
	global_store_dwordx4 v28, v[10:13], s[10:11] offset:16
	global_store_dwordx4 v28, v[10:13], s[10:11] offset:32
	;; [unrolled: 1-line block ×3, first 2 shown]
	s_and_saveexec_b32 s5, s4
	s_cbranch_execz .LBB8_149
; %bb.142:
	v_mov_b32_e32 v6, 0
	v_mov_b32_e32 v10, s8
	;; [unrolled: 1-line block ×3, first 2 shown]
	s_clause 0x1
	global_load_dwordx2 v[12:13], v6, s[6:7] offset:32 glc dlc
	global_load_dwordx2 v[0:1], v6, s[6:7] offset:40
	s_waitcnt vmcnt(0)
	v_readfirstlane_b32 s10, v0
	v_readfirstlane_b32 s11, v1
	s_and_b64 s[10:11], s[10:11], s[8:9]
	s_mul_i32 s11, s11, 24
	s_mul_hi_u32 s12, s10, 24
	s_mul_i32 s10, s10, 24
	s_add_i32 s12, s12, s11
	v_add_co_u32 v4, vcc_lo, v4, s10
	v_add_co_ci_u32_e64 v5, null, s12, v5, vcc_lo
	s_mov_b32 s10, exec_lo
	global_store_dwordx2 v[4:5], v[12:13], off
	s_waitcnt_vscnt null, 0x0
	global_atomic_cmpswap_x2 v[2:3], v6, v[10:13], s[6:7] offset:32 glc
	s_waitcnt vmcnt(0)
	v_cmpx_ne_u64_e64 v[2:3], v[12:13]
	s_cbranch_execz .LBB8_145
; %bb.143:
	s_mov_b32 s11, 0
.LBB8_144:                              ; =>This Inner Loop Header: Depth=1
	v_mov_b32_e32 v0, s8
	v_mov_b32_e32 v1, s9
	s_sleep 1
	global_store_dwordx2 v[4:5], v[2:3], off
	s_waitcnt_vscnt null, 0x0
	global_atomic_cmpswap_x2 v[0:1], v6, v[0:3], s[6:7] offset:32 glc
	s_waitcnt vmcnt(0)
	v_cmp_eq_u64_e32 vcc_lo, v[0:1], v[2:3]
	v_mov_b32_e32 v3, v1
	v_mov_b32_e32 v2, v0
	s_or_b32 s11, vcc_lo, s11
	s_andn2_b32 exec_lo, exec_lo, s11
	s_cbranch_execnz .LBB8_144
.LBB8_145:
	s_or_b32 exec_lo, exec_lo, s10
	v_mov_b32_e32 v3, 0
	s_mov_b32 s11, exec_lo
	s_mov_b32 s10, exec_lo
	v_mbcnt_lo_u32_b32 v2, s11, 0
	global_load_dwordx2 v[0:1], v3, s[6:7] offset:16
	v_cmpx_eq_u32_e32 0, v2
	s_cbranch_execz .LBB8_147
; %bb.146:
	s_bcnt1_i32_b32 s11, s11
	v_mov_b32_e32 v2, s11
	s_waitcnt vmcnt(0)
	global_atomic_add_x2 v[0:1], v[2:3], off offset:8
.LBB8_147:
	s_or_b32 exec_lo, exec_lo, s10
	s_waitcnt vmcnt(0)
	global_load_dwordx2 v[2:3], v[0:1], off offset:16
	s_waitcnt vmcnt(0)
	v_cmp_eq_u64_e32 vcc_lo, 0, v[2:3]
	s_cbranch_vccnz .LBB8_149
; %bb.148:
	global_load_dword v0, v[0:1], off offset:24
	v_mov_b32_e32 v1, 0
	s_waitcnt vmcnt(0)
	v_readfirstlane_b32 s10, v0
	s_waitcnt_vscnt null, 0x0
	global_store_dwordx2 v[2:3], v[0:1], off
	s_and_b32 m0, s10, 0x7fffff
	s_sendmsg sendmsg(MSG_INTERRUPT)
.LBB8_149:
	s_or_b32 exec_lo, exec_lo, s5
	s_branch .LBB8_153
	.p2align	6
.LBB8_150:                              ;   in Loop: Header=BB8_153 Depth=1
	s_or_b32 exec_lo, exec_lo, s5
	v_readfirstlane_b32 s5, v0
	s_cmp_eq_u32 s5, 0
	s_cbranch_scc1 .LBB8_152
; %bb.151:                              ;   in Loop: Header=BB8_153 Depth=1
	s_sleep 1
	s_cbranch_execnz .LBB8_153
	s_branch .LBB8_155
.LBB8_152:
	s_branch .LBB8_155
.LBB8_153:                              ; =>This Inner Loop Header: Depth=1
	v_mov_b32_e32 v0, 1
	s_and_saveexec_b32 s5, s4
	s_cbranch_execz .LBB8_150
; %bb.154:                              ;   in Loop: Header=BB8_153 Depth=1
	global_load_dword v0, v[8:9], off offset:20 glc dlc
	s_waitcnt vmcnt(0)
	buffer_gl1_inv
	buffer_gl0_inv
	v_and_b32_e32 v0, 1, v0
	s_branch .LBB8_150
.LBB8_155:
	s_and_saveexec_b32 s10, s4
	s_cbranch_execz .LBB8_159
; %bb.156:
	v_mov_b32_e32 v6, 0
	s_clause 0x2
	global_load_dwordx2 v[0:1], v6, s[6:7] offset:40
	global_load_dwordx2 v[9:10], v6, s[6:7] offset:24 glc dlc
	global_load_dwordx2 v[2:3], v6, s[6:7]
	s_waitcnt vmcnt(2)
	v_readfirstlane_b32 s12, v0
	v_readfirstlane_b32 s13, v1
	s_add_u32 s11, s12, 1
	s_addc_u32 s14, s13, 0
	s_add_u32 s4, s11, s8
	s_addc_u32 s5, s14, s9
	s_cmp_eq_u64 s[4:5], 0
	s_cselect_b32 s5, s14, s5
	s_cselect_b32 s4, s11, s4
	v_mov_b32_e32 v8, s5
	s_and_b64 s[8:9], s[4:5], s[12:13]
	v_mov_b32_e32 v7, s4
	s_mul_i32 s9, s9, 24
	s_mul_hi_u32 s11, s8, 24
	s_mul_i32 s8, s8, 24
	s_add_i32 s11, s11, s9
	s_waitcnt vmcnt(0)
	v_add_co_u32 v4, vcc_lo, v2, s8
	v_add_co_ci_u32_e64 v5, null, s11, v3, vcc_lo
	global_store_dwordx2 v[4:5], v[9:10], off
	s_waitcnt_vscnt null, 0x0
	global_atomic_cmpswap_x2 v[2:3], v6, v[7:10], s[6:7] offset:24 glc
	s_waitcnt vmcnt(0)
	v_cmp_ne_u64_e32 vcc_lo, v[2:3], v[9:10]
	s_and_b32 exec_lo, exec_lo, vcc_lo
	s_cbranch_execz .LBB8_159
; %bb.157:
	s_mov_b32 s8, 0
.LBB8_158:                              ; =>This Inner Loop Header: Depth=1
	v_mov_b32_e32 v0, s4
	v_mov_b32_e32 v1, s5
	s_sleep 1
	global_store_dwordx2 v[4:5], v[2:3], off
	s_waitcnt_vscnt null, 0x0
	global_atomic_cmpswap_x2 v[0:1], v6, v[0:3], s[6:7] offset:24 glc
	s_waitcnt vmcnt(0)
	v_cmp_eq_u64_e32 vcc_lo, v[0:1], v[2:3]
	v_mov_b32_e32 v3, v1
	v_mov_b32_e32 v2, v0
	s_or_b32 s8, vcc_lo, s8
	s_andn2_b32 exec_lo, exec_lo, s8
	s_cbranch_execnz .LBB8_158
.LBB8_159:
	s_or_b32 exec_lo, exec_lo, s10
.LBB8_160:
	s_add_u32 s8, s84, 0x58
	s_addc_u32 s9, s85, 0
	s_getpc_b64 s[4:5]
	s_add_u32 s4, s4, .str.29@rel32@lo+4
	s_addc_u32 s5, s5, .str.29@rel32@hi+12
	s_getpc_b64 s[6:7]
	s_add_u32 s6, s6, .str.19@rel32@lo+4
	s_addc_u32 s7, s7, .str.19@rel32@hi+12
	s_getpc_b64 s[10:11]
	s_add_u32 s10, s10, __PRETTY_FUNCTION__._ZN7VecsMemIjLi8192EE5fetchEi@rel32@lo+4
	s_addc_u32 s11, s11, __PRETTY_FUNCTION__._ZN7VecsMemIjLi8192EE5fetchEi@rel32@hi+12
	s_waitcnt vmcnt(0)
	v_mov_b32_e32 v0, s4
	v_mov_b32_e32 v1, s5
	v_mov_b32_e32 v2, s6
	v_mov_b32_e32 v3, s7
	v_mov_b32_e32 v4, 12
	v_mov_b32_e32 v5, s10
	v_mov_b32_e32 v6, s11
	s_getpc_b64 s[12:13]
	s_add_u32 s12, s12, __assert_fail@rel32@lo+4
	s_addc_u32 s13, s13, __assert_fail@rel32@hi+12
	s_swappc_b64 s[30:31], s[12:13]
	s_or_b32 s4, s54, exec_lo
.LBB8_161:
	s_or_b32 exec_lo, exec_lo, s26
	s_andn2_b32 s5, s54, exec_lo
	s_and_b32 s4, s4, exec_lo
	s_or_b32 s26, s5, s4
	s_orn2_b32 s4, s25, exec_lo
.LBB8_162:
	s_or_b32 exec_lo, exec_lo, s24
	s_and_saveexec_b32 s24, s4
	s_cbranch_execz .LBB8_175
; %bb.163:
	s_mov_b32 s25, 0
	s_mov_b32 s27, s26
	s_mov_b32 s4, exec_lo
	v_cmpx_ne_u32_e32 -1, v44
	s_xor_b32 s23, exec_lo, s4
	s_cbranch_execz .LBB8_172
; %bb.164:
	s_mov_b32 s6, 0
	s_mov_b32 s5, exec_lo
	v_cmpx_lt_i32_e32 0, v42
	s_cbranch_execz .LBB8_169
; %bb.165:
	s_clause 0x1
	buffer_load_dword v0, off, s[0:3], 0 offset:16
	buffer_load_dword v1, off, s[0:3], 0 offset:20
	v_mov_b32_e32 v2, v42
	v_mov_b32_e32 v3, v44
.LBB8_166:                              ; =>This Inner Loop Header: Depth=1
	s_waitcnt vmcnt(0)
	flat_load_dword v4, v[0:1]
	v_add_nc_u32_e32 v2, -1, v2
	v_add_co_u32 v0, vcc_lo, v0, 4
	v_add_co_ci_u32_e64 v1, null, 0, v1, vcc_lo
	v_cmp_eq_u32_e64 s4, 0, v2
	s_or_b32 s6, s4, s6
	s_waitcnt vmcnt(0) lgkmcnt(0)
	buffer_store_dword v4, v3, s[0:3], 0 offen
	v_add_nc_u32_e32 v3, 4, v3
	s_andn2_b32 exec_lo, exec_lo, s6
	s_cbranch_execnz .LBB8_166
; %bb.167:
	s_or_b32 exec_lo, exec_lo, s6
	v_mov_b32_e32 v0, v42
	s_mov_b32 s4, 28
	s_mov_b32 s6, 0
.LBB8_168:                              ; =>This Inner Loop Header: Depth=1
	buffer_load_dword v1, v44, s[0:3], 0 offen
	v_add_nc_u32_e32 v0, -1, v0
	v_mov_b32_e32 v2, s4
	v_add_nc_u32_e32 v44, 4, v44
	s_add_i32 s4, s4, 4
	v_cmp_eq_u32_e32 vcc_lo, 0, v0
	s_or_b32 s6, vcc_lo, s6
	s_waitcnt vmcnt(0)
	buffer_store_dword v1, v2, s[0:3], 0 offen
	s_andn2_b32 exec_lo, exec_lo, s6
	s_cbranch_execnz .LBB8_168
.LBB8_169:
	s_or_b32 exec_lo, exec_lo, s5
	buffer_load_dword v0, off, s[0:3], 0 offset:24
	s_mov_b32 s4, -1
	s_mov_b32 s5, s26
	s_mov_b32 s6, exec_lo
	s_waitcnt vmcnt(0)
	v_cmpx_lt_i32_e64 v0, v42
	s_xor_b32 s25, exec_lo, s6
	s_cbranch_execz .LBB8_171
; %bb.170:
	s_add_u32 s8, s84, 0x58
	s_addc_u32 s9, s85, 0
	s_getpc_b64 s[4:5]
	s_add_u32 s4, s4, .str.18@rel32@lo+4
	s_addc_u32 s5, s5, .str.18@rel32@hi+12
	s_getpc_b64 s[6:7]
	s_add_u32 s6, s6, .str.19@rel32@lo+4
	s_addc_u32 s7, s7, .str.19@rel32@hi+12
	s_getpc_b64 s[10:11]
	s_add_u32 s10, s10, __PRETTY_FUNCTION__._ZN7VecsMemIjLi8192EE6shrinkEi@rel32@lo+4
	s_addc_u32 s11, s11, __PRETTY_FUNCTION__._ZN7VecsMemIjLi8192EE6shrinkEi@rel32@hi+12
	v_mov_b32_e32 v0, s4
	v_mov_b32_e32 v1, s5
	;; [unrolled: 1-line block ×7, first 2 shown]
	s_getpc_b64 s[12:13]
	s_add_u32 s12, s12, __assert_fail@rel32@lo+4
	s_addc_u32 s13, s13, __assert_fail@rel32@hi+12
	s_swappc_b64 s[30:31], s[12:13]
	s_or_b32 s5, s26, exec_lo
	s_xor_b32 s4, exec_lo, -1
.LBB8_171:
	s_or_b32 exec_lo, exec_lo, s25
	s_andn2_b32 s6, s26, exec_lo
	s_and_b32 s5, s5, exec_lo
	s_and_b32 s25, s4, exec_lo
	s_or_b32 s27, s6, s5
.LBB8_172:
	s_andn2_saveexec_b32 s23, s23
	s_cbranch_execz .LBB8_174
; %bb.173:
	s_add_u32 s8, s84, 0x58
	s_addc_u32 s9, s85, 0
	s_getpc_b64 s[4:5]
	s_add_u32 s4, s4, .str.17@rel32@lo+4
	s_addc_u32 s5, s5, .str.17@rel32@hi+12
	s_getpc_b64 s[6:7]
	s_add_u32 s6, s6, .str.16@rel32@lo+4
	s_addc_u32 s7, s7, .str.16@rel32@hi+12
	s_getpc_b64 s[10:11]
	s_add_u32 s10, s10, __PRETTY_FUNCTION__._ZN3sop10minatoIsopEPKjiP7VecsMemIjLi8192EE@rel32@lo+4
	s_addc_u32 s11, s11, __PRETTY_FUNCTION__._ZN3sop10minatoIsopEPKjiP7VecsMemIjLi8192EE@rel32@hi+12
	v_mov_b32_e32 v0, s4
	v_mov_b32_e32 v1, s5
	;; [unrolled: 1-line block ×7, first 2 shown]
	s_getpc_b64 s[12:13]
	s_add_u32 s12, s12, __assert_fail@rel32@lo+4
	s_addc_u32 s13, s13, __assert_fail@rel32@hi+12
	s_swappc_b64 s[30:31], s[12:13]
	s_or_b32 s27, s27, exec_lo
.LBB8_174:
	s_or_b32 exec_lo, exec_lo, s23
	s_andn2_b32 s4, s26, exec_lo
	s_and_b32 s5, s27, exec_lo
	s_and_b32 s23, s25, exec_lo
	s_or_b32 s26, s4, s5
.LBB8_175:
	s_or_b32 exec_lo, exec_lo, s24
	s_andn2_b32 s4, s54, exec_lo
	s_and_b32 s5, s26, exec_lo
	s_andn2_b32 s21, s21, exec_lo
	s_or_b32 s39, s4, s5
	s_and_b32 s4, s23, exec_lo
.LBB8_176:
	s_or_b32 exec_lo, exec_lo, s22
	s_and_saveexec_b32 s5, s21
	s_cbranch_execz .LBB8_178
; %bb.177:
	buffer_load_dword v0, off, s[0:3], 0 offset:24
	s_andn2_b32 s4, s4, exec_lo
	s_mov_b32 s34, exec_lo
	s_waitcnt vmcnt(0)
	v_cmp_ge_i32_e32 vcc_lo, v0, v42
	v_mov_b32_e32 v0, 0
	s_and_b32 s6, vcc_lo, exec_lo
	buffer_store_dword v0, off, s[0:3], 0 offset:28
	s_or_b32 s4, s4, s6
.LBB8_178:
	s_or_b32 exec_lo, exec_lo, s5
	s_mov_b32 s5, 0
	s_mov_b32 s6, 0
	;; [unrolled: 1-line block ×3, first 2 shown]
	s_and_saveexec_b32 s96, s4
	s_cbranch_execz .LBB8_403
; %bb.179:
	s_mov_b32 s28, s39
	buffer_store_dword v42, off, s[0:3], 0 offset:24
	s_waitcnt_vscnt null, 0x0
	s_barrier
	buffer_gl0_inv
	s_mov_b32 s4, exec_lo
	v_cmpx_lt_i32_e32 15, v41
	s_xor_b32 s21, exec_lo, s4
	s_cbranch_execz .LBB8_181
; %bb.180:
	s_add_u32 s8, s84, 0x58
	s_addc_u32 s9, s85, 0
	s_getpc_b64 s[4:5]
	s_add_u32 s4, s4, .str.30@rel32@lo+4
	s_addc_u32 s5, s5, .str.30@rel32@hi+12
	s_getpc_b64 s[6:7]
	s_add_u32 s6, s6, .str.31@rel32@lo+4
	s_addc_u32 s7, s7, .str.31@rel32@hi+12
	s_getpc_b64 s[10:11]
	s_add_u32 s10, s10, __PRETTY_FUNCTION__._ZN3sop9sopFactorEPjiiPKiiP7VecsMemIjLi8192EEPN8subgUtil4SubgILi256EEE@rel32@lo+4
	s_addc_u32 s11, s11, __PRETTY_FUNCTION__._ZN3sop9sopFactorEPjiiPKiiP7VecsMemIjLi8192EEPN8subgUtil4SubgILi256EEE@rel32@hi+12
	v_mov_b32_e32 v0, s4
	v_mov_b32_e32 v1, s5
	;; [unrolled: 1-line block ×7, first 2 shown]
	s_getpc_b64 s[12:13]
	s_add_u32 s12, s12, __assert_fail@rel32@lo+4
	s_addc_u32 s13, s13, __assert_fail@rel32@hi+12
	s_swappc_b64 s[30:31], s[12:13]
	s_or_b32 s28, s39, exec_lo
                                        ; implicit-def: $vgpr62
                                        ; implicit-def: $vgpr41
                                        ; implicit-def: $vgpr60
                                        ; implicit-def: $vgpr43
.LBB8_181:
	s_or_saveexec_b32 s103, s21
	s_mov_b32 s4, 0
	s_mov_b32 s5, 0
	;; [unrolled: 1-line block ×3, first 2 shown]
	s_xor_b32 exec_lo, exec_lo, s103
	s_cbranch_execz .LBB8_402
; %bb.182:
	buffer_load_dword v42, off, s[0:3], 0 offset:24
	v_mov_b32_e32 v0, 0x8020
	s_mov_b32 s104, 0
	s_mov_b32 s82, 0
	s_mov_b32 s5, exec_lo
	buffer_store_dword v41, v0, s[0:3], 0 offen
	s_waitcnt vmcnt(0)
	v_cmpx_lt_i32_e32 0, v42
	s_xor_b32 s5, exec_lo, s5
	s_cbranch_execnz .LBB8_186
; %bb.183:
	s_andn2_saveexec_b32 s5, s5
	s_cbranch_execnz .LBB8_195
.LBB8_184:
	s_or_b32 exec_lo, exec_lo, s5
	s_mov_b32 s21, s28
	s_and_saveexec_b32 s48, s4
	s_cbranch_execnz .LBB8_196
.LBB8_185:
	s_or_b32 exec_lo, exec_lo, s48
	s_and_saveexec_b32 s4, s104
	s_cbranch_execnz .LBB8_368
	s_branch .LBB8_373
.LBB8_186:
	s_mov_b32 s4, -1
	s_mov_b32 s7, 0
	s_mov_b32 s6, exec_lo
	v_cmpx_eq_u32_e32 1, v42
	s_cbranch_execz .LBB8_194
; %bb.187:
	buffer_load_dword v0, off, s[0:3], 0 offset:28
	s_waitcnt vmcnt(0)
	v_cmp_eq_u32_e64 s4, 0, v0
	v_cmp_ne_u32_e32 vcc_lo, 0, v0
	s_and_saveexec_b32 s8, s4
	s_xor_b32 s4, exec_lo, s8
	s_cbranch_execz .LBB8_193
; %bb.188:
	v_add_nc_u32_e32 v1, 1, v41
	v_lshl_add_u32 v0, v41, 3, 0x8020
	v_mov_b32_e32 v2, 0x8020
	buffer_store_dword v1, v2, s[0:3], 0 offen
	s_mov_b32 s7, exec_lo
	v_readlane_b32 s8, v45, 0
	s_and_b32 s8, s7, s8
	s_xor_b32 s7, s8, s7
	s_mov_b32 exec_lo, s8
	s_cbranch_execz .LBB8_190
; %bb.189:
	v_mov_b32_e32 v1, 0
	buffer_store_dword v1, v0, s[0:3], 0 offen offset:12
	buffer_store_dword v1, v0, s[0:3], 0 offen offset:8
                                        ; implicit-def: $vgpr0
.LBB8_190:
	s_andn2_saveexec_b32 s7, s7
	s_cbranch_execz .LBB8_192
; %bb.191:
	v_mov_b32_e32 v1, 1
	v_mov_b32_e32 v2, 3
	buffer_store_dword v1, v0, s[0:3], 0 offen offset:12
	buffer_store_dword v2, v0, s[0:3], 0 offen offset:8
.LBB8_192:
	s_or_b32 exec_lo, exec_lo, s7
	s_mov_b32 s7, exec_lo
.LBB8_193:
	s_or_b32 exec_lo, exec_lo, s4
	s_and_b32 s7, s7, exec_lo
	s_orn2_b32 s4, vcc_lo, exec_lo
.LBB8_194:
	s_or_b32 exec_lo, exec_lo, s6
	s_and_b32 s82, s7, exec_lo
	s_and_b32 s4, s4, exec_lo
	s_andn2_saveexec_b32 s5, s5
	s_cbranch_execz .LBB8_184
.LBB8_195:
	v_cmp_ne_u32_e32 vcc_lo, 0, v42
	s_andn2_b32 s4, s4, exec_lo
	s_mov_b32 s104, exec_lo
	s_and_b32 s6, vcc_lo, exec_lo
	s_or_b32 s4, s4, s6
	s_or_b32 exec_lo, exec_lo, s5
	s_mov_b32 s21, s28
	s_and_saveexec_b32 s48, s4
	s_cbranch_execz .LBB8_185
.LBB8_196:
	v_mov_b32_e32 v0, 0
	v_mov_b32_e32 v44, -1
	s_mov_b32 s4, -1
	s_mov_b32 s86, s28
	s_mov_b32 s21, exec_lo
	buffer_store_dword v0, off, s[0:3], 0 offset:12
	v_cmpx_lt_i32_e32 0, v42
	s_cbranch_execz .LBB8_343
; %bb.197:
	v_mov_b32_e32 v44, -1
	s_mov_b32 s22, 0
	s_mov_b32 s4, exec_lo
	v_cmpx_gt_u32_e32 0x1001, v42
	s_xor_b32 s4, exec_lo, s4
	s_cbranch_execz .LBB8_199
; %bb.198:
	v_lshl_add_u32 v0, v42, 3, 24
	v_lshlrev_b32_e32 v1, 2, v42
	s_mov_b32 s22, exec_lo
	v_sub_nc_u32_e32 v0, v0, v1
	v_lshlrev_b32_e32 v1, 1, v42
	v_add_nc_u32_e32 v44, 4, v0
	buffer_store_dword v1, off, s[0:3], 0 offset:24
.LBB8_199:
	s_or_saveexec_b32 s23, s4
	s_mov_b32 s4, s28
	s_xor_b32 exec_lo, exec_lo, s23
	s_cbranch_execz .LBB8_342
; %bb.200:
	s_load_dwordx2 s[6:7], s[98:99], 0x50
	v_mbcnt_lo_u32_b32 v29, -1, 0
	v_mov_b32_e32 v6, 0
	v_mov_b32_e32 v7, 0
	v_readfirstlane_b32 s4, v29
	v_cmp_eq_u32_e64 s4, s4, v29
	s_and_saveexec_b32 s5, s4
	s_cbranch_execz .LBB8_206
; %bb.201:
	v_mov_b32_e32 v0, 0
	s_mov_b32 s8, exec_lo
	s_waitcnt lgkmcnt(0)
	global_load_dwordx2 v[3:4], v0, s[6:7] offset:24 glc dlc
	s_waitcnt vmcnt(0)
	buffer_gl1_inv
	buffer_gl0_inv
	s_clause 0x1
	global_load_dwordx2 v[1:2], v0, s[6:7] offset:40
	global_load_dwordx2 v[5:6], v0, s[6:7]
	s_waitcnt vmcnt(1)
	v_and_b32_e32 v2, v2, v4
	v_and_b32_e32 v1, v1, v3
	v_mul_lo_u32 v2, v2, 24
	v_mul_hi_u32 v7, v1, 24
	v_mul_lo_u32 v1, v1, 24
	v_add_nc_u32_e32 v2, v7, v2
	s_waitcnt vmcnt(0)
	v_add_co_u32 v1, vcc_lo, v5, v1
	v_add_co_ci_u32_e64 v2, null, v6, v2, vcc_lo
	global_load_dwordx2 v[1:2], v[1:2], off glc dlc
	s_waitcnt vmcnt(0)
	global_atomic_cmpswap_x2 v[6:7], v0, v[1:4], s[6:7] offset:24 glc
	s_waitcnt vmcnt(0)
	buffer_gl1_inv
	buffer_gl0_inv
	v_cmpx_ne_u64_e64 v[6:7], v[3:4]
	s_cbranch_execz .LBB8_205
; %bb.202:
	s_mov_b32 s9, 0
.LBB8_203:                              ; =>This Inner Loop Header: Depth=1
	s_sleep 1
	s_clause 0x1
	global_load_dwordx2 v[1:2], v0, s[6:7] offset:40
	global_load_dwordx2 v[8:9], v0, s[6:7]
	v_mov_b32_e32 v3, v6
	v_mov_b32_e32 v4, v7
	s_waitcnt vmcnt(1)
	v_and_b32_e32 v1, v1, v3
	v_and_b32_e32 v2, v2, v4
	s_waitcnt vmcnt(0)
	v_mad_u64_u32 v[5:6], null, v1, 24, v[8:9]
	v_mov_b32_e32 v1, v6
	v_mad_u64_u32 v[1:2], null, v2, 24, v[1:2]
	v_mov_b32_e32 v6, v1
	global_load_dwordx2 v[1:2], v[5:6], off glc dlc
	s_waitcnt vmcnt(0)
	global_atomic_cmpswap_x2 v[6:7], v0, v[1:4], s[6:7] offset:24 glc
	s_waitcnt vmcnt(0)
	buffer_gl1_inv
	buffer_gl0_inv
	v_cmp_eq_u64_e32 vcc_lo, v[6:7], v[3:4]
	s_or_b32 s9, vcc_lo, s9
	s_andn2_b32 exec_lo, exec_lo, s9
	s_cbranch_execnz .LBB8_203
; %bb.204:
	s_or_b32 exec_lo, exec_lo, s9
.LBB8_205:
	s_or_b32 exec_lo, exec_lo, s8
.LBB8_206:
	s_or_b32 exec_lo, exec_lo, s5
	v_mov_b32_e32 v5, 0
	v_readfirstlane_b32 s9, v7
	v_readfirstlane_b32 s8, v6
	s_mov_b32 s5, exec_lo
	s_waitcnt lgkmcnt(0)
	s_clause 0x1
	global_load_dwordx2 v[8:9], v5, s[6:7] offset:40
	global_load_dwordx4 v[0:3], v5, s[6:7]
	s_waitcnt vmcnt(1)
	v_readfirstlane_b32 s10, v8
	v_readfirstlane_b32 s11, v9
	s_and_b64 s[10:11], s[10:11], s[8:9]
	s_mul_i32 s12, s11, 24
	s_mul_hi_u32 s13, s10, 24
	s_mul_i32 s14, s10, 24
	s_add_i32 s13, s13, s12
	s_waitcnt vmcnt(0)
	v_add_co_u32 v8, vcc_lo, v0, s14
	v_add_co_ci_u32_e64 v9, null, s13, v1, vcc_lo
	s_and_saveexec_b32 s12, s4
	s_cbranch_execz .LBB8_208
; %bb.207:
	v_mov_b32_e32 v4, s5
	v_mov_b32_e32 v6, 2
	;; [unrolled: 1-line block ×3, first 2 shown]
	global_store_dwordx4 v[8:9], v[4:7], off offset:8
.LBB8_208:
	s_or_b32 exec_lo, exec_lo, s12
	s_lshl_b64 s[10:11], s[10:11], 12
	v_lshlrev_b32_e32 v28, 6, v29
	v_add_co_u32 v2, vcc_lo, v2, s10
	v_add_co_ci_u32_e64 v3, null, s11, v3, vcc_lo
	s_mov_b32 s12, 0
	v_add_co_u32 v10, vcc_lo, v2, v28
	s_mov_b32 s13, s12
	s_mov_b32 s14, s12
	;; [unrolled: 1-line block ×3, first 2 shown]
	v_mov_b32_e32 v4, 33
	v_mov_b32_e32 v6, v5
	;; [unrolled: 1-line block ×3, first 2 shown]
	v_readfirstlane_b32 s10, v2
	v_readfirstlane_b32 s11, v3
	v_mov_b32_e32 v12, s12
	v_add_co_ci_u32_e64 v11, null, 0, v3, vcc_lo
	v_mov_b32_e32 v13, s13
	v_mov_b32_e32 v14, s14
	;; [unrolled: 1-line block ×3, first 2 shown]
	global_store_dwordx4 v28, v[4:7], s[10:11]
	global_store_dwordx4 v28, v[12:15], s[10:11] offset:16
	global_store_dwordx4 v28, v[12:15], s[10:11] offset:32
	;; [unrolled: 1-line block ×3, first 2 shown]
	s_and_saveexec_b32 s5, s4
	s_cbranch_execz .LBB8_216
; %bb.209:
	v_mov_b32_e32 v6, 0
	v_mov_b32_e32 v12, s8
	;; [unrolled: 1-line block ×3, first 2 shown]
	s_mov_b32 s10, exec_lo
	s_clause 0x1
	global_load_dwordx2 v[14:15], v6, s[6:7] offset:32 glc dlc
	global_load_dwordx2 v[2:3], v6, s[6:7] offset:40
	s_waitcnt vmcnt(0)
	v_and_b32_e32 v3, s9, v3
	v_and_b32_e32 v2, s8, v2
	v_mul_lo_u32 v3, v3, 24
	v_mul_hi_u32 v4, v2, 24
	v_mul_lo_u32 v2, v2, 24
	v_add_nc_u32_e32 v3, v4, v3
	v_add_co_u32 v4, vcc_lo, v0, v2
	v_add_co_ci_u32_e64 v5, null, v1, v3, vcc_lo
	global_store_dwordx2 v[4:5], v[14:15], off
	s_waitcnt_vscnt null, 0x0
	global_atomic_cmpswap_x2 v[2:3], v6, v[12:15], s[6:7] offset:32 glc
	s_waitcnt vmcnt(0)
	v_cmpx_ne_u64_e64 v[2:3], v[14:15]
	s_cbranch_execz .LBB8_212
; %bb.210:
	s_mov_b32 s11, 0
.LBB8_211:                              ; =>This Inner Loop Header: Depth=1
	v_mov_b32_e32 v0, s8
	v_mov_b32_e32 v1, s9
	s_sleep 1
	global_store_dwordx2 v[4:5], v[2:3], off
	s_waitcnt_vscnt null, 0x0
	global_atomic_cmpswap_x2 v[0:1], v6, v[0:3], s[6:7] offset:32 glc
	s_waitcnt vmcnt(0)
	v_cmp_eq_u64_e32 vcc_lo, v[0:1], v[2:3]
	v_mov_b32_e32 v3, v1
	v_mov_b32_e32 v2, v0
	s_or_b32 s11, vcc_lo, s11
	s_andn2_b32 exec_lo, exec_lo, s11
	s_cbranch_execnz .LBB8_211
.LBB8_212:
	s_or_b32 exec_lo, exec_lo, s10
	v_mov_b32_e32 v3, 0
	s_mov_b32 s11, exec_lo
	s_mov_b32 s10, exec_lo
	v_mbcnt_lo_u32_b32 v2, s11, 0
	global_load_dwordx2 v[0:1], v3, s[6:7] offset:16
	v_cmpx_eq_u32_e32 0, v2
	s_cbranch_execz .LBB8_214
; %bb.213:
	s_bcnt1_i32_b32 s11, s11
	v_mov_b32_e32 v2, s11
	s_waitcnt vmcnt(0)
	global_atomic_add_x2 v[0:1], v[2:3], off offset:8
.LBB8_214:
	s_or_b32 exec_lo, exec_lo, s10
	s_waitcnt vmcnt(0)
	global_load_dwordx2 v[2:3], v[0:1], off offset:16
	s_waitcnt vmcnt(0)
	v_cmp_eq_u64_e32 vcc_lo, 0, v[2:3]
	s_cbranch_vccnz .LBB8_216
; %bb.215:
	global_load_dword v0, v[0:1], off offset:24
	v_mov_b32_e32 v1, 0
	s_waitcnt vmcnt(0)
	v_readfirstlane_b32 s10, v0
	s_waitcnt_vscnt null, 0x0
	global_store_dwordx2 v[2:3], v[0:1], off
	s_and_b32 m0, s10, 0x7fffff
	s_sendmsg sendmsg(MSG_INTERRUPT)
.LBB8_216:
	s_or_b32 exec_lo, exec_lo, s5
	s_branch .LBB8_220
.LBB8_217:                              ;   in Loop: Header=BB8_220 Depth=1
	s_or_b32 exec_lo, exec_lo, s5
	v_readfirstlane_b32 s5, v0
	s_cmp_eq_u32 s5, 0
	s_cbranch_scc1 .LBB8_219
; %bb.218:                              ;   in Loop: Header=BB8_220 Depth=1
	s_sleep 1
	s_cbranch_execnz .LBB8_220
	s_branch .LBB8_222
.LBB8_219:
	s_branch .LBB8_222
.LBB8_220:                              ; =>This Inner Loop Header: Depth=1
	v_mov_b32_e32 v0, 1
	s_and_saveexec_b32 s5, s4
	s_cbranch_execz .LBB8_217
; %bb.221:                              ;   in Loop: Header=BB8_220 Depth=1
	global_load_dword v0, v[8:9], off offset:20 glc dlc
	s_waitcnt vmcnt(0)
	buffer_gl1_inv
	buffer_gl0_inv
	v_and_b32_e32 v0, 1, v0
	s_branch .LBB8_217
.LBB8_222:
	global_load_dwordx2 v[0:1], v[10:11], off
	s_and_saveexec_b32 s10, s4
	s_cbranch_execz .LBB8_226
; %bb.223:
	v_mov_b32_e32 v8, 0
	s_clause 0x2
	global_load_dwordx2 v[2:3], v8, s[6:7] offset:40
	global_load_dwordx2 v[11:12], v8, s[6:7] offset:24 glc dlc
	global_load_dwordx2 v[4:5], v8, s[6:7]
	s_waitcnt vmcnt(2)
	v_readfirstlane_b32 s12, v2
	v_readfirstlane_b32 s13, v3
	s_add_u32 s11, s12, 1
	s_addc_u32 s14, s13, 0
	s_add_u32 s4, s11, s8
	s_addc_u32 s5, s14, s9
	s_cmp_eq_u64 s[4:5], 0
	s_cselect_b32 s5, s14, s5
	s_cselect_b32 s4, s11, s4
	v_mov_b32_e32 v10, s5
	s_and_b64 s[8:9], s[4:5], s[12:13]
	v_mov_b32_e32 v9, s4
	s_mul_i32 s9, s9, 24
	s_mul_hi_u32 s11, s8, 24
	s_mul_i32 s8, s8, 24
	s_add_i32 s11, s11, s9
	s_waitcnt vmcnt(0)
	v_add_co_u32 v6, vcc_lo, v4, s8
	v_add_co_ci_u32_e64 v7, null, s11, v5, vcc_lo
	global_store_dwordx2 v[6:7], v[11:12], off
	s_waitcnt_vscnt null, 0x0
	global_atomic_cmpswap_x2 v[4:5], v8, v[9:12], s[6:7] offset:24 glc
	s_waitcnt vmcnt(0)
	v_cmp_ne_u64_e32 vcc_lo, v[4:5], v[11:12]
	s_and_b32 exec_lo, exec_lo, vcc_lo
	s_cbranch_execz .LBB8_226
; %bb.224:
	s_mov_b32 s8, 0
.LBB8_225:                              ; =>This Inner Loop Header: Depth=1
	v_mov_b32_e32 v2, s4
	v_mov_b32_e32 v3, s5
	s_sleep 1
	global_store_dwordx2 v[6:7], v[4:5], off
	s_waitcnt_vscnt null, 0x0
	global_atomic_cmpswap_x2 v[2:3], v8, v[2:5], s[6:7] offset:24 glc
	s_waitcnt vmcnt(0)
	v_cmp_eq_u64_e32 vcc_lo, v[2:3], v[4:5]
	v_mov_b32_e32 v5, v3
	v_mov_b32_e32 v4, v2
	s_or_b32 s8, vcc_lo, s8
	s_andn2_b32 exec_lo, exec_lo, s8
	s_cbranch_execnz .LBB8_225
.LBB8_226:
	s_or_b32 exec_lo, exec_lo, s10
	s_getpc_b64 s[8:9]
	s_add_u32 s8, s8, .str.28@rel32@lo+4
	s_addc_u32 s9, s9, .str.28@rel32@hi+12
	s_cmp_lg_u64 s[8:9], 0
	s_cbranch_scc0 .LBB8_312
; %bb.227:
	s_waitcnt vmcnt(0)
	v_and_b32_e32 v6, -3, v0
	v_mov_b32_e32 v7, v1
	v_mov_b32_e32 v3, 0
	;; [unrolled: 1-line block ×4, first 2 shown]
	s_mov_b64 s[10:11], 35
	s_branch .LBB8_229
.LBB8_228:                              ;   in Loop: Header=BB8_229 Depth=1
	s_or_b32 exec_lo, exec_lo, s16
	s_sub_u32 s10, s10, s12
	s_subb_u32 s11, s11, s13
	s_add_u32 s8, s8, s12
	s_addc_u32 s9, s9, s13
	s_cmp_lg_u64 s[10:11], 0
	s_cbranch_scc0 .LBB8_311
.LBB8_229:                              ; =>This Loop Header: Depth=1
                                        ;     Child Loop BB8_232 Depth 2
                                        ;     Child Loop BB8_240 Depth 2
	;; [unrolled: 1-line block ×11, first 2 shown]
	v_cmp_lt_u64_e64 s4, s[10:11], 56
	v_cmp_gt_u64_e64 s14, s[10:11], 7
	s_and_b32 s4, s4, exec_lo
	s_cselect_b32 s13, s11, 0
	s_cselect_b32 s12, s10, 56
	s_add_u32 s4, s8, 8
	s_addc_u32 s5, s9, 0
	s_and_b32 vcc_lo, exec_lo, s14
	s_cbranch_vccnz .LBB8_234
; %bb.230:                              ;   in Loop: Header=BB8_229 Depth=1
	s_waitcnt vmcnt(0)
	v_mov_b32_e32 v8, 0
	v_mov_b32_e32 v9, 0
	s_cmp_eq_u64 s[10:11], 0
	s_cbranch_scc1 .LBB8_233
; %bb.231:                              ;   in Loop: Header=BB8_229 Depth=1
	s_lshl_b64 s[4:5], s[12:13], 3
	s_mov_b64 s[14:15], 0
	s_mov_b64 s[16:17], s[8:9]
.LBB8_232:                              ;   Parent Loop BB8_229 Depth=1
                                        ; =>  This Inner Loop Header: Depth=2
	global_load_ubyte v2, v3, s[16:17]
	s_waitcnt vmcnt(0)
	v_and_b32_e32 v2, 0xffff, v2
	v_lshlrev_b64 v[10:11], s14, v[2:3]
	s_add_u32 s14, s14, 8
	s_addc_u32 s15, s15, 0
	s_add_u32 s16, s16, 1
	s_addc_u32 s17, s17, 0
	s_cmp_lg_u32 s4, s14
	v_or_b32_e32 v8, v10, v8
	v_or_b32_e32 v9, v11, v9
	s_cbranch_scc1 .LBB8_232
.LBB8_233:                              ;   in Loop: Header=BB8_229 Depth=1
	s_mov_b32 s14, 0
	s_mov_b64 s[4:5], s[8:9]
	s_branch .LBB8_235
.LBB8_234:                              ;   in Loop: Header=BB8_229 Depth=1
	s_mov_b32 s14, -1
.LBB8_235:                              ;   in Loop: Header=BB8_229 Depth=1
	s_andn2_b32 vcc_lo, exec_lo, s14
	s_mov_b32 s18, 0
	s_cbranch_vccnz .LBB8_237
; %bb.236:                              ;   in Loop: Header=BB8_229 Depth=1
	global_load_dwordx2 v[8:9], v3, s[8:9]
	s_add_i32 s18, s12, -8
.LBB8_237:                              ;   in Loop: Header=BB8_229 Depth=1
	s_add_u32 s14, s4, 8
	s_addc_u32 s15, s5, 0
	s_cmp_gt_u32 s18, 7
	s_cbranch_scc1 .LBB8_242
; %bb.238:                              ;   in Loop: Header=BB8_229 Depth=1
	v_mov_b32_e32 v10, 0
	v_mov_b32_e32 v11, 0
	s_cmp_eq_u32 s18, 0
	s_cbranch_scc1 .LBB8_241
; %bb.239:                              ;   in Loop: Header=BB8_229 Depth=1
	s_mov_b64 s[14:15], 0
	s_mov_b64 s[16:17], 0
.LBB8_240:                              ;   Parent Loop BB8_229 Depth=1
                                        ; =>  This Inner Loop Header: Depth=2
	s_add_u32 s24, s4, s16
	s_addc_u32 s25, s5, s17
	s_add_u32 s16, s16, 1
	global_load_ubyte v2, v3, s[24:25]
	s_addc_u32 s17, s17, 0
	s_waitcnt vmcnt(0)
	v_and_b32_e32 v2, 0xffff, v2
	v_lshlrev_b64 v[12:13], s14, v[2:3]
	s_add_u32 s14, s14, 8
	s_addc_u32 s15, s15, 0
	s_cmp_lg_u32 s18, s16
	v_or_b32_e32 v10, v12, v10
	v_or_b32_e32 v11, v13, v11
	s_cbranch_scc1 .LBB8_240
.LBB8_241:                              ;   in Loop: Header=BB8_229 Depth=1
	s_mov_b32 s16, 0
	s_mov_b64 s[14:15], s[4:5]
	s_branch .LBB8_243
.LBB8_242:                              ;   in Loop: Header=BB8_229 Depth=1
	s_mov_b32 s16, -1
                                        ; implicit-def: $vgpr10_vgpr11
.LBB8_243:                              ;   in Loop: Header=BB8_229 Depth=1
	s_andn2_b32 vcc_lo, exec_lo, s16
	s_mov_b32 s19, 0
	s_cbranch_vccnz .LBB8_245
; %bb.244:                              ;   in Loop: Header=BB8_229 Depth=1
	global_load_dwordx2 v[10:11], v3, s[4:5]
	s_add_i32 s19, s18, -8
.LBB8_245:                              ;   in Loop: Header=BB8_229 Depth=1
	s_add_u32 s4, s14, 8
	s_addc_u32 s5, s15, 0
	s_cmp_gt_u32 s19, 7
	s_cbranch_scc1 .LBB8_250
; %bb.246:                              ;   in Loop: Header=BB8_229 Depth=1
	v_mov_b32_e32 v12, 0
	v_mov_b32_e32 v13, 0
	s_cmp_eq_u32 s19, 0
	s_cbranch_scc1 .LBB8_249
; %bb.247:                              ;   in Loop: Header=BB8_229 Depth=1
	s_mov_b64 s[4:5], 0
	s_mov_b64 s[16:17], 0
.LBB8_248:                              ;   Parent Loop BB8_229 Depth=1
                                        ; =>  This Inner Loop Header: Depth=2
	s_add_u32 s24, s14, s16
	s_addc_u32 s25, s15, s17
	s_add_u32 s16, s16, 1
	global_load_ubyte v2, v3, s[24:25]
	s_addc_u32 s17, s17, 0
	s_waitcnt vmcnt(0)
	v_and_b32_e32 v2, 0xffff, v2
	v_lshlrev_b64 v[14:15], s4, v[2:3]
	s_add_u32 s4, s4, 8
	s_addc_u32 s5, s5, 0
	s_cmp_lg_u32 s19, s16
	v_or_b32_e32 v12, v14, v12
	v_or_b32_e32 v13, v15, v13
	s_cbranch_scc1 .LBB8_248
.LBB8_249:                              ;   in Loop: Header=BB8_229 Depth=1
	s_mov_b32 s16, 0
	s_mov_b64 s[4:5], s[14:15]
	s_branch .LBB8_251
.LBB8_250:                              ;   in Loop: Header=BB8_229 Depth=1
	s_mov_b32 s16, -1
.LBB8_251:                              ;   in Loop: Header=BB8_229 Depth=1
	s_andn2_b32 vcc_lo, exec_lo, s16
	s_mov_b32 s18, 0
	s_cbranch_vccnz .LBB8_253
; %bb.252:                              ;   in Loop: Header=BB8_229 Depth=1
	global_load_dwordx2 v[12:13], v3, s[14:15]
	s_add_i32 s18, s19, -8
.LBB8_253:                              ;   in Loop: Header=BB8_229 Depth=1
	s_add_u32 s14, s4, 8
	s_addc_u32 s15, s5, 0
	s_cmp_gt_u32 s18, 7
	s_cbranch_scc1 .LBB8_258
; %bb.254:                              ;   in Loop: Header=BB8_229 Depth=1
	v_mov_b32_e32 v14, 0
	v_mov_b32_e32 v15, 0
	s_cmp_eq_u32 s18, 0
	s_cbranch_scc1 .LBB8_257
; %bb.255:                              ;   in Loop: Header=BB8_229 Depth=1
	s_mov_b64 s[14:15], 0
	s_mov_b64 s[16:17], 0
.LBB8_256:                              ;   Parent Loop BB8_229 Depth=1
                                        ; =>  This Inner Loop Header: Depth=2
	s_add_u32 s24, s4, s16
	s_addc_u32 s25, s5, s17
	s_add_u32 s16, s16, 1
	global_load_ubyte v2, v3, s[24:25]
	s_addc_u32 s17, s17, 0
	s_waitcnt vmcnt(0)
	v_and_b32_e32 v2, 0xffff, v2
	v_lshlrev_b64 v[16:17], s14, v[2:3]
	s_add_u32 s14, s14, 8
	s_addc_u32 s15, s15, 0
	s_cmp_lg_u32 s18, s16
	v_or_b32_e32 v14, v16, v14
	v_or_b32_e32 v15, v17, v15
	s_cbranch_scc1 .LBB8_256
.LBB8_257:                              ;   in Loop: Header=BB8_229 Depth=1
	s_mov_b32 s16, 0
	s_mov_b64 s[14:15], s[4:5]
	s_branch .LBB8_259
.LBB8_258:                              ;   in Loop: Header=BB8_229 Depth=1
	s_mov_b32 s16, -1
                                        ; implicit-def: $vgpr14_vgpr15
.LBB8_259:                              ;   in Loop: Header=BB8_229 Depth=1
	s_andn2_b32 vcc_lo, exec_lo, s16
	s_mov_b32 s19, 0
	s_cbranch_vccnz .LBB8_261
; %bb.260:                              ;   in Loop: Header=BB8_229 Depth=1
	global_load_dwordx2 v[14:15], v3, s[4:5]
	s_add_i32 s19, s18, -8
.LBB8_261:                              ;   in Loop: Header=BB8_229 Depth=1
	s_add_u32 s4, s14, 8
	s_addc_u32 s5, s15, 0
	s_cmp_gt_u32 s19, 7
	s_cbranch_scc1 .LBB8_266
; %bb.262:                              ;   in Loop: Header=BB8_229 Depth=1
	v_mov_b32_e32 v16, 0
	v_mov_b32_e32 v17, 0
	s_cmp_eq_u32 s19, 0
	s_cbranch_scc1 .LBB8_265
; %bb.263:                              ;   in Loop: Header=BB8_229 Depth=1
	s_mov_b64 s[4:5], 0
	s_mov_b64 s[16:17], 0
.LBB8_264:                              ;   Parent Loop BB8_229 Depth=1
                                        ; =>  This Inner Loop Header: Depth=2
	s_add_u32 s24, s14, s16
	s_addc_u32 s25, s15, s17
	s_add_u32 s16, s16, 1
	global_load_ubyte v2, v3, s[24:25]
	s_addc_u32 s17, s17, 0
	s_waitcnt vmcnt(0)
	v_and_b32_e32 v2, 0xffff, v2
	v_lshlrev_b64 v[18:19], s4, v[2:3]
	s_add_u32 s4, s4, 8
	s_addc_u32 s5, s5, 0
	s_cmp_lg_u32 s19, s16
	v_or_b32_e32 v16, v18, v16
	v_or_b32_e32 v17, v19, v17
	s_cbranch_scc1 .LBB8_264
.LBB8_265:                              ;   in Loop: Header=BB8_229 Depth=1
	s_mov_b32 s16, 0
	s_mov_b64 s[4:5], s[14:15]
	s_branch .LBB8_267
.LBB8_266:                              ;   in Loop: Header=BB8_229 Depth=1
	s_mov_b32 s16, -1
.LBB8_267:                              ;   in Loop: Header=BB8_229 Depth=1
	s_andn2_b32 vcc_lo, exec_lo, s16
	s_mov_b32 s18, 0
	s_cbranch_vccnz .LBB8_269
; %bb.268:                              ;   in Loop: Header=BB8_229 Depth=1
	global_load_dwordx2 v[16:17], v3, s[14:15]
	s_add_i32 s18, s19, -8
.LBB8_269:                              ;   in Loop: Header=BB8_229 Depth=1
	s_add_u32 s14, s4, 8
	s_addc_u32 s15, s5, 0
	s_cmp_gt_u32 s18, 7
	s_cbranch_scc1 .LBB8_274
; %bb.270:                              ;   in Loop: Header=BB8_229 Depth=1
	v_mov_b32_e32 v18, 0
	v_mov_b32_e32 v19, 0
	s_cmp_eq_u32 s18, 0
	s_cbranch_scc1 .LBB8_273
; %bb.271:                              ;   in Loop: Header=BB8_229 Depth=1
	s_mov_b64 s[14:15], 0
	s_mov_b64 s[16:17], 0
.LBB8_272:                              ;   Parent Loop BB8_229 Depth=1
                                        ; =>  This Inner Loop Header: Depth=2
	s_add_u32 s24, s4, s16
	s_addc_u32 s25, s5, s17
	s_add_u32 s16, s16, 1
	global_load_ubyte v2, v3, s[24:25]
	s_addc_u32 s17, s17, 0
	s_waitcnt vmcnt(0)
	v_and_b32_e32 v2, 0xffff, v2
	v_lshlrev_b64 v[20:21], s14, v[2:3]
	s_add_u32 s14, s14, 8
	s_addc_u32 s15, s15, 0
	s_cmp_lg_u32 s18, s16
	v_or_b32_e32 v18, v20, v18
	v_or_b32_e32 v19, v21, v19
	s_cbranch_scc1 .LBB8_272
.LBB8_273:                              ;   in Loop: Header=BB8_229 Depth=1
	s_mov_b32 s16, 0
	s_mov_b64 s[14:15], s[4:5]
	s_branch .LBB8_275
.LBB8_274:                              ;   in Loop: Header=BB8_229 Depth=1
	s_mov_b32 s16, -1
                                        ; implicit-def: $vgpr18_vgpr19
.LBB8_275:                              ;   in Loop: Header=BB8_229 Depth=1
	s_andn2_b32 vcc_lo, exec_lo, s16
	s_mov_b32 s19, 0
	s_cbranch_vccnz .LBB8_277
; %bb.276:                              ;   in Loop: Header=BB8_229 Depth=1
	global_load_dwordx2 v[18:19], v3, s[4:5]
	s_add_i32 s19, s18, -8
.LBB8_277:                              ;   in Loop: Header=BB8_229 Depth=1
	s_cmp_gt_u32 s19, 7
	s_cbranch_scc1 .LBB8_282
; %bb.278:                              ;   in Loop: Header=BB8_229 Depth=1
	v_mov_b32_e32 v20, 0
	v_mov_b32_e32 v21, 0
	s_cmp_eq_u32 s19, 0
	s_cbranch_scc1 .LBB8_281
; %bb.279:                              ;   in Loop: Header=BB8_229 Depth=1
	s_mov_b64 s[4:5], 0
	s_mov_b64 s[16:17], s[14:15]
.LBB8_280:                              ;   Parent Loop BB8_229 Depth=1
                                        ; =>  This Inner Loop Header: Depth=2
	global_load_ubyte v2, v3, s[16:17]
	s_add_i32 s19, s19, -1
	s_waitcnt vmcnt(0)
	v_and_b32_e32 v2, 0xffff, v2
	v_lshlrev_b64 v[22:23], s4, v[2:3]
	s_add_u32 s4, s4, 8
	s_addc_u32 s5, s5, 0
	s_add_u32 s16, s16, 1
	s_addc_u32 s17, s17, 0
	s_cmp_lg_u32 s19, 0
	v_or_b32_e32 v20, v22, v20
	v_or_b32_e32 v21, v23, v21
	s_cbranch_scc1 .LBB8_280
.LBB8_281:                              ;   in Loop: Header=BB8_229 Depth=1
	s_mov_b32 s4, 0
	s_branch .LBB8_283
.LBB8_282:                              ;   in Loop: Header=BB8_229 Depth=1
	s_mov_b32 s4, -1
.LBB8_283:                              ;   in Loop: Header=BB8_229 Depth=1
	s_andn2_b32 vcc_lo, exec_lo, s4
	s_cbranch_vccnz .LBB8_285
; %bb.284:                              ;   in Loop: Header=BB8_229 Depth=1
	global_load_dwordx2 v[20:21], v3, s[14:15]
.LBB8_285:                              ;   in Loop: Header=BB8_229 Depth=1
	v_readfirstlane_b32 s4, v29
	v_mov_b32_e32 v26, 0
	v_mov_b32_e32 v27, 0
	v_cmp_eq_u32_e64 s4, s4, v29
	s_and_saveexec_b32 s5, s4
	s_cbranch_execz .LBB8_291
; %bb.286:                              ;   in Loop: Header=BB8_229 Depth=1
	global_load_dwordx2 v[24:25], v3, s[6:7] offset:24 glc dlc
	s_waitcnt vmcnt(0)
	buffer_gl1_inv
	buffer_gl0_inv
	s_clause 0x1
	global_load_dwordx2 v[22:23], v3, s[6:7] offset:40
	global_load_dwordx2 v[26:27], v3, s[6:7]
	s_mov_b32 s14, exec_lo
	s_waitcnt vmcnt(1)
	v_and_b32_e32 v2, v23, v25
	v_and_b32_e32 v22, v22, v24
	v_mul_lo_u32 v2, v2, 24
	v_mul_hi_u32 v23, v22, 24
	v_mul_lo_u32 v22, v22, 24
	v_add_nc_u32_e32 v2, v23, v2
	s_waitcnt vmcnt(0)
	v_add_co_u32 v22, vcc_lo, v26, v22
	v_add_co_ci_u32_e64 v23, null, v27, v2, vcc_lo
	global_load_dwordx2 v[22:23], v[22:23], off glc dlc
	s_waitcnt vmcnt(0)
	global_atomic_cmpswap_x2 v[26:27], v3, v[22:25], s[6:7] offset:24 glc
	s_waitcnt vmcnt(0)
	buffer_gl1_inv
	buffer_gl0_inv
	v_cmpx_ne_u64_e64 v[26:27], v[24:25]
	s_cbranch_execz .LBB8_290
; %bb.287:                              ;   in Loop: Header=BB8_229 Depth=1
	s_mov_b32 s15, 0
	.p2align	6
.LBB8_288:                              ;   Parent Loop BB8_229 Depth=1
                                        ; =>  This Inner Loop Header: Depth=2
	s_sleep 1
	s_clause 0x1
	global_load_dwordx2 v[22:23], v3, s[6:7] offset:40
	global_load_dwordx2 v[30:31], v3, s[6:7]
	v_mov_b32_e32 v24, v26
	v_mov_b32_e32 v25, v27
	s_waitcnt vmcnt(1)
	v_and_b32_e32 v2, v22, v24
	v_and_b32_e32 v22, v23, v25
	s_waitcnt vmcnt(0)
	v_mad_u64_u32 v[26:27], null, v2, 24, v[30:31]
	v_mov_b32_e32 v2, v27
	v_mad_u64_u32 v[22:23], null, v22, 24, v[2:3]
	v_mov_b32_e32 v27, v22
	global_load_dwordx2 v[22:23], v[26:27], off glc dlc
	s_waitcnt vmcnt(0)
	global_atomic_cmpswap_x2 v[26:27], v3, v[22:25], s[6:7] offset:24 glc
	s_waitcnt vmcnt(0)
	buffer_gl1_inv
	buffer_gl0_inv
	v_cmp_eq_u64_e32 vcc_lo, v[26:27], v[24:25]
	s_or_b32 s15, vcc_lo, s15
	s_andn2_b32 exec_lo, exec_lo, s15
	s_cbranch_execnz .LBB8_288
; %bb.289:                              ;   in Loop: Header=BB8_229 Depth=1
	s_or_b32 exec_lo, exec_lo, s15
.LBB8_290:                              ;   in Loop: Header=BB8_229 Depth=1
	s_or_b32 exec_lo, exec_lo, s14
.LBB8_291:                              ;   in Loop: Header=BB8_229 Depth=1
	s_or_b32 exec_lo, exec_lo, s5
	s_clause 0x1
	global_load_dwordx2 v[30:31], v3, s[6:7] offset:40
	global_load_dwordx4 v[22:25], v3, s[6:7]
	v_readfirstlane_b32 s15, v27
	v_readfirstlane_b32 s14, v26
	s_mov_b32 s5, exec_lo
	s_waitcnt vmcnt(1)
	v_readfirstlane_b32 s16, v30
	v_readfirstlane_b32 s17, v31
	s_and_b64 s[16:17], s[16:17], s[14:15]
	s_mul_i32 s18, s17, 24
	s_mul_hi_u32 s19, s16, 24
	s_mul_i32 s20, s16, 24
	s_add_i32 s19, s19, s18
	s_waitcnt vmcnt(0)
	v_add_co_u32 v26, vcc_lo, v22, s20
	v_add_co_ci_u32_e64 v27, null, s19, v23, vcc_lo
	s_and_saveexec_b32 s18, s4
	s_cbranch_execz .LBB8_293
; %bb.292:                              ;   in Loop: Header=BB8_229 Depth=1
	v_mov_b32_e32 v2, s5
	global_store_dwordx4 v[26:27], v[2:5], off offset:8
.LBB8_293:                              ;   in Loop: Header=BB8_229 Depth=1
	s_or_b32 exec_lo, exec_lo, s18
	v_cmp_gt_u64_e64 s5, s[10:11], 56
	s_lshl_b64 s[16:17], s[16:17], 12
	v_and_b32_e32 v2, 0xffffff1f, v6
	v_add_co_u32 v24, vcc_lo, v24, s16
	v_add_co_ci_u32_e64 v25, null, s17, v25, vcc_lo
	s_and_b32 s5, s5, exec_lo
	s_cselect_b32 s5, 0, 2
	s_lshl_b32 s18, s12, 2
	v_or_b32_e32 v2, s5, v2
	v_readfirstlane_b32 s16, v24
	v_readfirstlane_b32 s17, v25
	s_add_i32 s18, s18, 28
	v_and_or_b32 v6, 0x1e0, s18, v2
	global_store_dwordx4 v28, v[10:13], s[16:17] offset:16
	global_store_dwordx4 v28, v[14:17], s[16:17] offset:32
	global_store_dwordx4 v28, v[6:9], s[16:17]
	global_store_dwordx4 v28, v[18:21], s[16:17] offset:48
	s_and_saveexec_b32 s5, s4
	s_cbranch_execz .LBB8_301
; %bb.294:                              ;   in Loop: Header=BB8_229 Depth=1
	s_clause 0x1
	global_load_dwordx2 v[14:15], v3, s[6:7] offset:32 glc dlc
	global_load_dwordx2 v[6:7], v3, s[6:7] offset:40
	v_mov_b32_e32 v12, s14
	v_mov_b32_e32 v13, s15
	s_waitcnt vmcnt(0)
	v_readfirstlane_b32 s16, v6
	v_readfirstlane_b32 s17, v7
	s_and_b64 s[16:17], s[16:17], s[14:15]
	s_mul_i32 s17, s17, 24
	s_mul_hi_u32 s18, s16, 24
	s_mul_i32 s16, s16, 24
	s_add_i32 s18, s18, s17
	v_add_co_u32 v10, vcc_lo, v22, s16
	v_add_co_ci_u32_e64 v11, null, s18, v23, vcc_lo
	s_mov_b32 s16, exec_lo
	global_store_dwordx2 v[10:11], v[14:15], off
	s_waitcnt_vscnt null, 0x0
	global_atomic_cmpswap_x2 v[8:9], v3, v[12:15], s[6:7] offset:32 glc
	s_waitcnt vmcnt(0)
	v_cmpx_ne_u64_e64 v[8:9], v[14:15]
	s_cbranch_execz .LBB8_297
; %bb.295:                              ;   in Loop: Header=BB8_229 Depth=1
	s_mov_b32 s17, 0
.LBB8_296:                              ;   Parent Loop BB8_229 Depth=1
                                        ; =>  This Inner Loop Header: Depth=2
	v_mov_b32_e32 v6, s14
	v_mov_b32_e32 v7, s15
	s_sleep 1
	global_store_dwordx2 v[10:11], v[8:9], off
	s_waitcnt_vscnt null, 0x0
	global_atomic_cmpswap_x2 v[6:7], v3, v[6:9], s[6:7] offset:32 glc
	s_waitcnt vmcnt(0)
	v_cmp_eq_u64_e32 vcc_lo, v[6:7], v[8:9]
	v_mov_b32_e32 v9, v7
	v_mov_b32_e32 v8, v6
	s_or_b32 s17, vcc_lo, s17
	s_andn2_b32 exec_lo, exec_lo, s17
	s_cbranch_execnz .LBB8_296
.LBB8_297:                              ;   in Loop: Header=BB8_229 Depth=1
	s_or_b32 exec_lo, exec_lo, s16
	global_load_dwordx2 v[6:7], v3, s[6:7] offset:16
	s_mov_b32 s17, exec_lo
	s_mov_b32 s16, exec_lo
	v_mbcnt_lo_u32_b32 v2, s17, 0
	v_cmpx_eq_u32_e32 0, v2
	s_cbranch_execz .LBB8_299
; %bb.298:                              ;   in Loop: Header=BB8_229 Depth=1
	s_bcnt1_i32_b32 s17, s17
	v_mov_b32_e32 v2, s17
	s_waitcnt vmcnt(0)
	global_atomic_add_x2 v[6:7], v[2:3], off offset:8
.LBB8_299:                              ;   in Loop: Header=BB8_229 Depth=1
	s_or_b32 exec_lo, exec_lo, s16
	s_waitcnt vmcnt(0)
	global_load_dwordx2 v[8:9], v[6:7], off offset:16
	s_waitcnt vmcnt(0)
	v_cmp_eq_u64_e32 vcc_lo, 0, v[8:9]
	s_cbranch_vccnz .LBB8_301
; %bb.300:                              ;   in Loop: Header=BB8_229 Depth=1
	global_load_dword v2, v[6:7], off offset:24
	s_waitcnt vmcnt(0)
	v_readfirstlane_b32 s16, v2
	s_waitcnt_vscnt null, 0x0
	global_store_dwordx2 v[8:9], v[2:3], off
	s_and_b32 m0, s16, 0x7fffff
	s_sendmsg sendmsg(MSG_INTERRUPT)
.LBB8_301:                              ;   in Loop: Header=BB8_229 Depth=1
	s_or_b32 exec_lo, exec_lo, s5
	v_add_co_u32 v6, vcc_lo, v24, v28
	v_add_co_ci_u32_e64 v7, null, 0, v25, vcc_lo
	s_branch .LBB8_305
	.p2align	6
.LBB8_302:                              ;   in Loop: Header=BB8_305 Depth=2
	s_or_b32 exec_lo, exec_lo, s5
	v_readfirstlane_b32 s5, v2
	s_cmp_eq_u32 s5, 0
	s_cbranch_scc1 .LBB8_304
; %bb.303:                              ;   in Loop: Header=BB8_305 Depth=2
	s_sleep 1
	s_cbranch_execnz .LBB8_305
	s_branch .LBB8_307
	.p2align	6
.LBB8_304:                              ;   in Loop: Header=BB8_229 Depth=1
	s_branch .LBB8_307
.LBB8_305:                              ;   Parent Loop BB8_229 Depth=1
                                        ; =>  This Inner Loop Header: Depth=2
	v_mov_b32_e32 v2, 1
	s_and_saveexec_b32 s5, s4
	s_cbranch_execz .LBB8_302
; %bb.306:                              ;   in Loop: Header=BB8_305 Depth=2
	global_load_dword v2, v[26:27], off offset:20 glc dlc
	s_waitcnt vmcnt(0)
	buffer_gl1_inv
	buffer_gl0_inv
	v_and_b32_e32 v2, 1, v2
	s_branch .LBB8_302
.LBB8_307:                              ;   in Loop: Header=BB8_229 Depth=1
	global_load_dwordx4 v[6:9], v[6:7], off
	s_and_saveexec_b32 s16, s4
	s_cbranch_execz .LBB8_228
; %bb.308:                              ;   in Loop: Header=BB8_229 Depth=1
	s_clause 0x2
	global_load_dwordx2 v[8:9], v3, s[6:7] offset:40
	global_load_dwordx2 v[16:17], v3, s[6:7] offset:24 glc dlc
	global_load_dwordx2 v[10:11], v3, s[6:7]
	s_waitcnt vmcnt(2)
	v_readfirstlane_b32 s18, v8
	v_readfirstlane_b32 s19, v9
	s_add_u32 s17, s18, 1
	s_addc_u32 s20, s19, 0
	s_add_u32 s4, s17, s14
	s_addc_u32 s5, s20, s15
	s_cmp_eq_u64 s[4:5], 0
	s_cselect_b32 s5, s20, s5
	s_cselect_b32 s4, s17, s4
	v_mov_b32_e32 v15, s5
	s_and_b64 s[14:15], s[4:5], s[18:19]
	v_mov_b32_e32 v14, s4
	s_mul_i32 s15, s15, 24
	s_mul_hi_u32 s17, s14, 24
	s_mul_i32 s14, s14, 24
	s_add_i32 s17, s17, s15
	s_waitcnt vmcnt(0)
	v_add_co_u32 v12, vcc_lo, v10, s14
	v_add_co_ci_u32_e64 v13, null, s17, v11, vcc_lo
	global_store_dwordx2 v[12:13], v[16:17], off
	s_waitcnt_vscnt null, 0x0
	global_atomic_cmpswap_x2 v[10:11], v3, v[14:17], s[6:7] offset:24 glc
	s_waitcnt vmcnt(0)
	v_cmp_ne_u64_e32 vcc_lo, v[10:11], v[16:17]
	s_and_b32 exec_lo, exec_lo, vcc_lo
	s_cbranch_execz .LBB8_228
; %bb.309:                              ;   in Loop: Header=BB8_229 Depth=1
	s_mov_b32 s14, 0
.LBB8_310:                              ;   Parent Loop BB8_229 Depth=1
                                        ; =>  This Inner Loop Header: Depth=2
	v_mov_b32_e32 v8, s4
	v_mov_b32_e32 v9, s5
	s_sleep 1
	global_store_dwordx2 v[12:13], v[10:11], off
	s_waitcnt_vscnt null, 0x0
	global_atomic_cmpswap_x2 v[8:9], v3, v[8:11], s[6:7] offset:24 glc
	s_waitcnt vmcnt(0)
	v_cmp_eq_u64_e32 vcc_lo, v[8:9], v[10:11]
	v_mov_b32_e32 v11, v9
	v_mov_b32_e32 v10, v8
	s_or_b32 s14, vcc_lo, s14
	s_andn2_b32 exec_lo, exec_lo, s14
	s_cbranch_execnz .LBB8_310
	s_branch .LBB8_228
.LBB8_311:
	s_mov_b32 s4, 0
	s_branch .LBB8_313
.LBB8_312:
	s_mov_b32 s4, -1
.LBB8_313:
	s_and_b32 vcc_lo, exec_lo, s4
	s_cbranch_vccz .LBB8_341
; %bb.314:
	v_readfirstlane_b32 s4, v29
	s_waitcnt vmcnt(0)
	v_mov_b32_e32 v8, 0
	v_mov_b32_e32 v9, 0
	v_cmp_eq_u32_e64 s4, s4, v29
	s_and_saveexec_b32 s5, s4
	s_cbranch_execz .LBB8_320
; %bb.315:
	v_mov_b32_e32 v2, 0
	s_mov_b32 s8, exec_lo
	global_load_dwordx2 v[5:6], v2, s[6:7] offset:24 glc dlc
	s_waitcnt vmcnt(0)
	buffer_gl1_inv
	buffer_gl0_inv
	s_clause 0x1
	global_load_dwordx2 v[3:4], v2, s[6:7] offset:40
	global_load_dwordx2 v[7:8], v2, s[6:7]
	s_waitcnt vmcnt(1)
	v_and_b32_e32 v4, v4, v6
	v_and_b32_e32 v3, v3, v5
	v_mul_lo_u32 v4, v4, 24
	v_mul_hi_u32 v9, v3, 24
	v_mul_lo_u32 v3, v3, 24
	v_add_nc_u32_e32 v4, v9, v4
	s_waitcnt vmcnt(0)
	v_add_co_u32 v3, vcc_lo, v7, v3
	v_add_co_ci_u32_e64 v4, null, v8, v4, vcc_lo
	global_load_dwordx2 v[3:4], v[3:4], off glc dlc
	s_waitcnt vmcnt(0)
	global_atomic_cmpswap_x2 v[8:9], v2, v[3:6], s[6:7] offset:24 glc
	s_waitcnt vmcnt(0)
	buffer_gl1_inv
	buffer_gl0_inv
	v_cmpx_ne_u64_e64 v[8:9], v[5:6]
	s_cbranch_execz .LBB8_319
; %bb.316:
	s_mov_b32 s9, 0
.LBB8_317:                              ; =>This Inner Loop Header: Depth=1
	s_sleep 1
	s_clause 0x1
	global_load_dwordx2 v[3:4], v2, s[6:7] offset:40
	global_load_dwordx2 v[10:11], v2, s[6:7]
	v_mov_b32_e32 v5, v8
	v_mov_b32_e32 v6, v9
	s_waitcnt vmcnt(1)
	v_and_b32_e32 v3, v3, v5
	v_and_b32_e32 v4, v4, v6
	s_waitcnt vmcnt(0)
	v_mad_u64_u32 v[7:8], null, v3, 24, v[10:11]
	v_mov_b32_e32 v3, v8
	v_mad_u64_u32 v[3:4], null, v4, 24, v[3:4]
	v_mov_b32_e32 v8, v3
	global_load_dwordx2 v[3:4], v[7:8], off glc dlc
	s_waitcnt vmcnt(0)
	global_atomic_cmpswap_x2 v[8:9], v2, v[3:6], s[6:7] offset:24 glc
	s_waitcnt vmcnt(0)
	buffer_gl1_inv
	buffer_gl0_inv
	v_cmp_eq_u64_e32 vcc_lo, v[8:9], v[5:6]
	s_or_b32 s9, vcc_lo, s9
	s_andn2_b32 exec_lo, exec_lo, s9
	s_cbranch_execnz .LBB8_317
; %bb.318:
	s_or_b32 exec_lo, exec_lo, s9
.LBB8_319:
	s_or_b32 exec_lo, exec_lo, s8
.LBB8_320:
	s_or_b32 exec_lo, exec_lo, s5
	v_mov_b32_e32 v2, 0
	v_readfirstlane_b32 s9, v9
	v_readfirstlane_b32 s8, v8
	s_mov_b32 s5, exec_lo
	s_clause 0x1
	global_load_dwordx2 v[10:11], v2, s[6:7] offset:40
	global_load_dwordx4 v[4:7], v2, s[6:7]
	s_waitcnt vmcnt(1)
	v_readfirstlane_b32 s10, v10
	v_readfirstlane_b32 s11, v11
	s_and_b64 s[10:11], s[10:11], s[8:9]
	s_mul_i32 s12, s11, 24
	s_mul_hi_u32 s13, s10, 24
	s_mul_i32 s14, s10, 24
	s_add_i32 s13, s13, s12
	s_waitcnt vmcnt(0)
	v_add_co_u32 v8, vcc_lo, v4, s14
	v_add_co_ci_u32_e64 v9, null, s13, v5, vcc_lo
	s_and_saveexec_b32 s12, s4
	s_cbranch_execz .LBB8_322
; %bb.321:
	v_mov_b32_e32 v10, s5
	v_mov_b32_e32 v11, v2
	;; [unrolled: 1-line block ×4, first 2 shown]
	global_store_dwordx4 v[8:9], v[10:13], off offset:8
.LBB8_322:
	s_or_b32 exec_lo, exec_lo, s12
	s_lshl_b64 s[10:11], s[10:11], 12
	s_mov_b32 s12, 0
	v_add_co_u32 v6, vcc_lo, v6, s10
	v_add_co_ci_u32_e64 v7, null, s11, v7, vcc_lo
	s_mov_b32 s13, s12
	s_mov_b32 s14, s12
	;; [unrolled: 1-line block ×3, first 2 shown]
	v_and_or_b32 v0, 0xffffff1d, v0, 34
	v_mov_b32_e32 v3, v2
	v_readfirstlane_b32 s10, v6
	v_readfirstlane_b32 s11, v7
	v_mov_b32_e32 v10, s12
	v_mov_b32_e32 v11, s13
	;; [unrolled: 1-line block ×4, first 2 shown]
	global_store_dwordx4 v28, v[0:3], s[10:11]
	global_store_dwordx4 v28, v[10:13], s[10:11] offset:16
	global_store_dwordx4 v28, v[10:13], s[10:11] offset:32
	;; [unrolled: 1-line block ×3, first 2 shown]
	s_and_saveexec_b32 s5, s4
	s_cbranch_execz .LBB8_330
; %bb.323:
	v_mov_b32_e32 v6, 0
	v_mov_b32_e32 v10, s8
	;; [unrolled: 1-line block ×3, first 2 shown]
	s_clause 0x1
	global_load_dwordx2 v[12:13], v6, s[6:7] offset:32 glc dlc
	global_load_dwordx2 v[0:1], v6, s[6:7] offset:40
	s_waitcnt vmcnt(0)
	v_readfirstlane_b32 s10, v0
	v_readfirstlane_b32 s11, v1
	s_and_b64 s[10:11], s[10:11], s[8:9]
	s_mul_i32 s11, s11, 24
	s_mul_hi_u32 s12, s10, 24
	s_mul_i32 s10, s10, 24
	s_add_i32 s12, s12, s11
	v_add_co_u32 v4, vcc_lo, v4, s10
	v_add_co_ci_u32_e64 v5, null, s12, v5, vcc_lo
	s_mov_b32 s10, exec_lo
	global_store_dwordx2 v[4:5], v[12:13], off
	s_waitcnt_vscnt null, 0x0
	global_atomic_cmpswap_x2 v[2:3], v6, v[10:13], s[6:7] offset:32 glc
	s_waitcnt vmcnt(0)
	v_cmpx_ne_u64_e64 v[2:3], v[12:13]
	s_cbranch_execz .LBB8_326
; %bb.324:
	s_mov_b32 s11, 0
.LBB8_325:                              ; =>This Inner Loop Header: Depth=1
	v_mov_b32_e32 v0, s8
	v_mov_b32_e32 v1, s9
	s_sleep 1
	global_store_dwordx2 v[4:5], v[2:3], off
	s_waitcnt_vscnt null, 0x0
	global_atomic_cmpswap_x2 v[0:1], v6, v[0:3], s[6:7] offset:32 glc
	s_waitcnt vmcnt(0)
	v_cmp_eq_u64_e32 vcc_lo, v[0:1], v[2:3]
	v_mov_b32_e32 v3, v1
	v_mov_b32_e32 v2, v0
	s_or_b32 s11, vcc_lo, s11
	s_andn2_b32 exec_lo, exec_lo, s11
	s_cbranch_execnz .LBB8_325
.LBB8_326:
	s_or_b32 exec_lo, exec_lo, s10
	v_mov_b32_e32 v3, 0
	s_mov_b32 s11, exec_lo
	s_mov_b32 s10, exec_lo
	v_mbcnt_lo_u32_b32 v2, s11, 0
	global_load_dwordx2 v[0:1], v3, s[6:7] offset:16
	v_cmpx_eq_u32_e32 0, v2
	s_cbranch_execz .LBB8_328
; %bb.327:
	s_bcnt1_i32_b32 s11, s11
	v_mov_b32_e32 v2, s11
	s_waitcnt vmcnt(0)
	global_atomic_add_x2 v[0:1], v[2:3], off offset:8
.LBB8_328:
	s_or_b32 exec_lo, exec_lo, s10
	s_waitcnt vmcnt(0)
	global_load_dwordx2 v[2:3], v[0:1], off offset:16
	s_waitcnt vmcnt(0)
	v_cmp_eq_u64_e32 vcc_lo, 0, v[2:3]
	s_cbranch_vccnz .LBB8_330
; %bb.329:
	global_load_dword v0, v[0:1], off offset:24
	v_mov_b32_e32 v1, 0
	s_waitcnt vmcnt(0)
	v_readfirstlane_b32 s10, v0
	s_waitcnt_vscnt null, 0x0
	global_store_dwordx2 v[2:3], v[0:1], off
	s_and_b32 m0, s10, 0x7fffff
	s_sendmsg sendmsg(MSG_INTERRUPT)
.LBB8_330:
	s_or_b32 exec_lo, exec_lo, s5
	s_branch .LBB8_334
.LBB8_331:                              ;   in Loop: Header=BB8_334 Depth=1
	s_or_b32 exec_lo, exec_lo, s5
	v_readfirstlane_b32 s5, v0
	s_cmp_eq_u32 s5, 0
	s_cbranch_scc1 .LBB8_333
; %bb.332:                              ;   in Loop: Header=BB8_334 Depth=1
	s_sleep 1
	s_cbranch_execnz .LBB8_334
	s_branch .LBB8_336
.LBB8_333:
	s_branch .LBB8_336
.LBB8_334:                              ; =>This Inner Loop Header: Depth=1
	v_mov_b32_e32 v0, 1
	s_and_saveexec_b32 s5, s4
	s_cbranch_execz .LBB8_331
; %bb.335:                              ;   in Loop: Header=BB8_334 Depth=1
	global_load_dword v0, v[8:9], off offset:20 glc dlc
	s_waitcnt vmcnt(0)
	buffer_gl1_inv
	buffer_gl0_inv
	v_and_b32_e32 v0, 1, v0
	s_branch .LBB8_331
.LBB8_336:
	s_and_saveexec_b32 s10, s4
	s_cbranch_execz .LBB8_340
; %bb.337:
	v_mov_b32_e32 v6, 0
	s_clause 0x2
	global_load_dwordx2 v[0:1], v6, s[6:7] offset:40
	global_load_dwordx2 v[9:10], v6, s[6:7] offset:24 glc dlc
	global_load_dwordx2 v[2:3], v6, s[6:7]
	s_waitcnt vmcnt(2)
	v_readfirstlane_b32 s12, v0
	v_readfirstlane_b32 s13, v1
	s_add_u32 s11, s12, 1
	s_addc_u32 s14, s13, 0
	s_add_u32 s4, s11, s8
	s_addc_u32 s5, s14, s9
	s_cmp_eq_u64 s[4:5], 0
	s_cselect_b32 s5, s14, s5
	s_cselect_b32 s4, s11, s4
	v_mov_b32_e32 v8, s5
	s_and_b64 s[8:9], s[4:5], s[12:13]
	v_mov_b32_e32 v7, s4
	s_mul_i32 s9, s9, 24
	s_mul_hi_u32 s11, s8, 24
	s_mul_i32 s8, s8, 24
	s_add_i32 s11, s11, s9
	s_waitcnt vmcnt(0)
	v_add_co_u32 v4, vcc_lo, v2, s8
	v_add_co_ci_u32_e64 v5, null, s11, v3, vcc_lo
	global_store_dwordx2 v[4:5], v[9:10], off
	s_waitcnt_vscnt null, 0x0
	global_atomic_cmpswap_x2 v[2:3], v6, v[7:10], s[6:7] offset:24 glc
	s_waitcnt vmcnt(0)
	v_cmp_ne_u64_e32 vcc_lo, v[2:3], v[9:10]
	s_and_b32 exec_lo, exec_lo, vcc_lo
	s_cbranch_execz .LBB8_340
; %bb.338:
	s_mov_b32 s8, 0
.LBB8_339:                              ; =>This Inner Loop Header: Depth=1
	v_mov_b32_e32 v0, s4
	v_mov_b32_e32 v1, s5
	s_sleep 1
	global_store_dwordx2 v[4:5], v[2:3], off
	s_waitcnt_vscnt null, 0x0
	global_atomic_cmpswap_x2 v[0:1], v6, v[0:3], s[6:7] offset:24 glc
	s_waitcnt vmcnt(0)
	v_cmp_eq_u64_e32 vcc_lo, v[0:1], v[2:3]
	v_mov_b32_e32 v3, v1
	v_mov_b32_e32 v2, v0
	s_or_b32 s8, vcc_lo, s8
	s_andn2_b32 exec_lo, exec_lo, s8
	s_cbranch_execnz .LBB8_339
.LBB8_340:
	s_or_b32 exec_lo, exec_lo, s10
.LBB8_341:
	s_add_u32 s8, s84, 0x58
	s_addc_u32 s9, s85, 0
	s_getpc_b64 s[4:5]
	s_add_u32 s4, s4, .str.29@rel32@lo+4
	s_addc_u32 s5, s5, .str.29@rel32@hi+12
	s_getpc_b64 s[6:7]
	s_add_u32 s6, s6, .str.19@rel32@lo+4
	s_addc_u32 s7, s7, .str.19@rel32@hi+12
	s_getpc_b64 s[10:11]
	s_add_u32 s10, s10, __PRETTY_FUNCTION__._ZN7VecsMemIjLi8192EE5fetchEi@rel32@lo+4
	s_addc_u32 s11, s11, __PRETTY_FUNCTION__._ZN7VecsMemIjLi8192EE5fetchEi@rel32@hi+12
	s_waitcnt vmcnt(0)
	v_mov_b32_e32 v0, s4
	v_mov_b32_e32 v1, s5
	;; [unrolled: 1-line block ×7, first 2 shown]
	s_getpc_b64 s[12:13]
	s_add_u32 s12, s12, __assert_fail@rel32@lo+4
	s_addc_u32 s13, s13, __assert_fail@rel32@hi+12
	s_swappc_b64 s[30:31], s[12:13]
	s_or_b32 s4, s28, exec_lo
.LBB8_342:
	s_or_b32 exec_lo, exec_lo, s23
	s_andn2_b32 s5, s28, exec_lo
	s_and_b32 s4, s4, exec_lo
	s_or_b32 s86, s5, s4
	s_orn2_b32 s4, s22, exec_lo
.LBB8_343:
	s_or_b32 exec_lo, exec_lo, s21
	s_mov_b32 s5, s82
	s_and_saveexec_b32 s49, s4
	s_cbranch_execz .LBB8_367
; %bb.344:
	v_cmp_ne_u32_e32 vcc_lo, -1, v44
	s_mov_b64 s[4:5], src_private_base
	s_mov_b32 s4, exec_lo
	v_cndmask_b32_e64 v1, 0, s5, vcc_lo
	v_cndmask_b32_e32 v0, 0, v44, vcc_lo
	s_mov_b32 s5, 0
	buffer_store_dword v1, off, s[0:3], 0 offset:20
	buffer_store_dword v0, off, s[0:3], 0 offset:16
	v_cmpx_lt_i32_e32 0, v42
	s_cbranch_execz .LBB8_348
; %bb.345:
	v_mov_b32_e32 v0, v42
	s_mov_b32 s6, 28
.LBB8_346:                              ; =>This Inner Loop Header: Depth=1
	v_mov_b32_e32 v1, s6
	v_add_nc_u32_e32 v0, -1, v0
	s_add_i32 s6, s6, 4
	buffer_load_dword v1, v1, s[0:3], 0 offen
	v_cmp_eq_u32_e32 vcc_lo, 0, v0
	s_or_b32 s5, vcc_lo, s5
	s_waitcnt vmcnt(0)
	v_lshrrev_b32_e32 v2, 1, v1
	v_or_b32_e32 v2, v2, v1
	v_and_b32_e32 v2, 0x55555555, v2
	v_lshl_add_u32 v2, v2, 1, v2
	v_xor_b32_e32 v1, v2, v1
	buffer_store_dword v1, v44, s[0:3], 0 offen
	v_add_nc_u32_e32 v44, 4, v44
	s_andn2_b32 exec_lo, exec_lo, s5
	s_cbranch_execnz .LBB8_346
; %bb.347:
	s_or_b32 exec_lo, exec_lo, s5
	buffer_store_dword v42, off, s[0:3], 0 offset:12
.LBB8_348:
	v_writelane_b32 v45, s49, 1
	v_writelane_b32 v45, s48, 2
	;; [unrolled: 1-line block ×4, first 2 shown]
	s_or_b32 exec_lo, exec_lo, s4
	s_mov_b32 s11, s97
	s_mov_b64 s[4:5], src_private_base
	v_lshlrev_b32_e32 v2, 1, v41
	v_mov_b32_e32 v0, 8
	v_mov_b32_e32 v1, s5
	;; [unrolled: 1-line block ×6, first 2 shown]
	s_add_u32 s8, s84, 0x58
	s_addc_u32 s9, s85, 0
	s_getpc_b64 s[6:7]
	s_add_u32 s6, s6, _ZN3sop12sopFactorRecEPNS_3SopEiP7VecsMemIjLi8192EEPN8subgUtil4SubgILi256EEE@rel32@lo+4
	s_addc_u32 s7, s7, _ZN3sop12sopFactorRecEPNS_3SopEiP7VecsMemIjLi8192EEPN8subgUtil4SubgILi256EEE@rel32@hi+12
	s_mov_b32 s97, s52
	s_mov_b32 s98, s28
	;; [unrolled: 1-line block ×3, first 2 shown]
	s_swappc_b64 s[30:31], s[6:7]
	v_ashrrev_i32_e32 v1, 1, v0
	s_mov_b32 s21, s82
	s_mov_b32 s22, s86
	v_cmp_ge_i32_e32 vcc_lo, v1, v41
	s_and_saveexec_b32 s4, vcc_lo
	s_load_dwordx16 s[36:51], s[84:85], 0x0
	s_waitcnt lgkmcnt(0)
	v_readlane_b32 s39, v45, 4
	v_readlane_b32 s54, v45, 3
	;; [unrolled: 1-line block ×4, first 2 shown]
	s_xor_b32 s23, exec_lo, s4
	s_mov_b32 s34, s99
	s_mov_b32 s28, s98
	;; [unrolled: 1-line block ×3, first 2 shown]
	s_cbranch_execz .LBB8_356
; %bb.349:
	s_mov_b32 s4, -1
	s_mov_b32 s5, s86
	s_and_saveexec_b32 s21, s83
	s_cbranch_execz .LBB8_355
; %bb.350:
	v_mov_b32_e32 v1, 0x8020
	s_mov_b32 s22, 0
	buffer_load_dword v0, v1, s[0:3], 0 offen
	s_waitcnt vmcnt(0)
	v_lshl_add_u32 v2, v0, 3, 0x8020
	s_clause 0x1
	buffer_load_dword v0, v2, s[0:3], 0 offen
	buffer_load_dword v1, v2, s[0:3], 0 offen offset:4
	s_waitcnt vmcnt(1)
	v_lshrrev_b32_e32 v3, 1, v0
	s_waitcnt vmcnt(0)
	v_cmp_lt_i64_e32 vcc_lo, -1, v[0:1]
	v_cmp_ge_i32_e64 s4, v3, v1
	s_and_b32 s4, vcc_lo, s4
	s_and_saveexec_b32 s5, s4
	s_xor_b32 s4, exec_lo, s5
	s_cbranch_execz .LBB8_352
; %bb.351:
	v_xor_b32_e32 v0, 1, v0
	s_mov_b32 s22, exec_lo
	buffer_store_dword v1, v2, s[0:3], 0 offen offset:4
	buffer_store_dword v0, v2, s[0:3], 0 offen
.LBB8_352:
	s_or_saveexec_b32 s24, s4
	s_mov_b32 s4, s86
	s_xor_b32 exec_lo, exec_lo, s24
	s_cbranch_execz .LBB8_354
; %bb.353:
	s_add_u32 s8, s84, 0x58
	s_addc_u32 s9, s85, 0
	s_getpc_b64 s[4:5]
	s_add_u32 s4, s4, .str.46@rel32@lo+4
	s_addc_u32 s5, s5, .str.46@rel32@hi+12
	s_getpc_b64 s[6:7]
	s_add_u32 s6, s6, .str.44@rel32@lo+4
	s_addc_u32 s7, s7, .str.44@rel32@hi+12
	s_getpc_b64 s[10:11]
	s_add_u32 s10, s10, __PRETTY_FUNCTION__._ZN8subgUtil18formAndNodeKeyFlagEiii@rel32@lo+4
	s_addc_u32 s11, s11, __PRETTY_FUNCTION__._ZN8subgUtil18formAndNodeKeyFlagEiii@rel32@hi+12
	v_mov_b32_e32 v0, s4
	v_mov_b32_e32 v1, s5
	;; [unrolled: 1-line block ×7, first 2 shown]
	s_getpc_b64 s[12:13]
	s_add_u32 s12, s12, __assert_fail@rel32@lo+4
	s_addc_u32 s13, s13, __assert_fail@rel32@hi+12
	s_swappc_b64 s[30:31], s[12:13]
	s_or_b32 s4, s86, exec_lo
.LBB8_354:
	s_or_b32 exec_lo, exec_lo, s24
	s_andn2_b32 s5, s86, exec_lo
	s_and_b32 s4, s4, exec_lo
	s_or_b32 s5, s5, s4
	s_orn2_b32 s4, s22, exec_lo
.LBB8_355:
	s_or_b32 exec_lo, exec_lo, s21
	s_andn2_b32 s6, s86, exec_lo
	s_and_b32 s5, s5, exec_lo
	s_andn2_b32 s7, s82, exec_lo
	s_and_b32 s4, s4, exec_lo
	s_or_b32 s22, s6, s5
	s_or_b32 s21, s7, s4
                                        ; implicit-def: $vgpr1
                                        ; implicit-def: $vgpr0
.LBB8_356:
	s_andn2_saveexec_b32 s23, s23
	s_cbranch_execz .LBB8_366
; %bb.357:
	v_mov_b32_e32 v3, 0x8020
	s_mov_b32 s24, s22
	s_mov_b32 s4, exec_lo
	buffer_load_dword v2, v3, s[0:3], 0 offen
	s_waitcnt vmcnt(0)
	v_cmpx_ne_u32_e64 v2, v41
	s_xor_b32 s25, exec_lo, s4
	s_cbranch_execz .LBB8_359
; %bb.358:
	s_add_u32 s8, s84, 0x58
	s_addc_u32 s9, s85, 0
	s_getpc_b64 s[4:5]
	s_add_u32 s4, s4, .str.32@rel32@lo+4
	s_addc_u32 s5, s5, .str.32@rel32@hi+12
	s_getpc_b64 s[6:7]
	s_add_u32 s6, s6, .str.31@rel32@lo+4
	s_addc_u32 s7, s7, .str.31@rel32@hi+12
	s_getpc_b64 s[10:11]
	s_add_u32 s10, s10, __PRETTY_FUNCTION__._ZN3sop9sopFactorEPjiiPKiiP7VecsMemIjLi8192EEPN8subgUtil4SubgILi256EEE@rel32@lo+4
	s_addc_u32 s11, s11, __PRETTY_FUNCTION__._ZN3sop9sopFactorEPjiiPKiiP7VecsMemIjLi8192EEPN8subgUtil4SubgILi256EEE@rel32@hi+12
	v_mov_b32_e32 v0, s4
	v_mov_b32_e32 v1, s5
	;; [unrolled: 1-line block ×7, first 2 shown]
	s_getpc_b64 s[12:13]
	s_add_u32 s12, s12, __assert_fail@rel32@lo+4
	s_addc_u32 s13, s13, __assert_fail@rel32@hi+12
	s_swappc_b64 s[30:31], s[12:13]
	s_or_b32 s24, s22, exec_lo
                                        ; implicit-def: $vgpr1
                                        ; implicit-def: $vgpr0
.LBB8_359:
	s_or_saveexec_b32 s25, s25
	s_mov_b32 s4, s21
	s_xor_b32 exec_lo, exec_lo, s25
	s_cbranch_execz .LBB8_365
; %bb.360:
	v_ashrrev_i32_e32 v61, 31, v60
	v_ashrrev_i32_e32 v2, 31, v1
	s_mov_b32 s26, s21
	s_mov_b32 s4, exec_lo
	v_lshlrev_b64 v[3:4], 2, v[60:61]
	v_lshlrev_b64 v[1:2], 2, v[1:2]
	v_add_co_u32 v3, vcc_lo, s36, v3
	v_add_co_ci_u32_e64 v4, null, s37, v4, vcc_lo
	v_add_co_u32 v1, vcc_lo, v3, v1
	v_add_co_ci_u32_e64 v2, null, v4, v2, vcc_lo
	global_load_dword v1, v[1:2], off
	s_waitcnt vmcnt(0)
	v_lshlrev_b32_e32 v1, 1, v1
	v_cmpx_lt_i32_e32 -1, v1
	s_xor_b32 s4, exec_lo, s4
	s_cbranch_execz .LBB8_362
; %bb.361:
	v_and_b32_e32 v0, 1, v0
	v_add_nc_u32_e32 v2, 1, v41
	v_lshl_add_u32 v3, v41, 3, 0x8020
	v_mov_b32_e32 v4, 0x8020
	s_or_b32 s26, s21, exec_lo
	v_cmp_eq_u32_e32 vcc_lo, 1, v0
	s_xor_b32 s5, s83, vcc_lo
	v_cndmask_b32_e64 v0, 0, 1, s5
	v_or_b32_e32 v1, v1, v0
	buffer_store_dword v2, v4, s[0:3], 0 offen
	buffer_store_dword v1, v3, s[0:3], 0 offen offset:12
	v_lshl_or_b32 v0, v1, 1, v0
	buffer_store_dword v0, v3, s[0:3], 0 offen offset:8
.LBB8_362:
	s_or_saveexec_b32 s27, s4
	s_mov_b32 s4, s24
	s_xor_b32 exec_lo, exec_lo, s27
	s_cbranch_execz .LBB8_364
; %bb.363:
	s_add_u32 s8, s84, 0x58
	s_addc_u32 s9, s85, 0
	s_getpc_b64 s[4:5]
	s_add_u32 s4, s4, .str.46@rel32@lo+4
	s_addc_u32 s5, s5, .str.46@rel32@hi+12
	s_getpc_b64 s[6:7]
	s_add_u32 s6, s6, .str.44@rel32@lo+4
	s_addc_u32 s7, s7, .str.44@rel32@hi+12
	s_getpc_b64 s[10:11]
	s_add_u32 s10, s10, __PRETTY_FUNCTION__._ZN8subgUtil18formAndNodeKeyFlagEiii@rel32@lo+4
	s_addc_u32 s11, s11, __PRETTY_FUNCTION__._ZN8subgUtil18formAndNodeKeyFlagEiii@rel32@hi+12
	v_mov_b32_e32 v0, s4
	v_mov_b32_e32 v1, s5
	;; [unrolled: 1-line block ×7, first 2 shown]
	s_getpc_b64 s[12:13]
	s_add_u32 s12, s12, __assert_fail@rel32@lo+4
	s_addc_u32 s13, s13, __assert_fail@rel32@hi+12
	s_swappc_b64 s[30:31], s[12:13]
	s_or_b32 s4, s24, exec_lo
.LBB8_364:
	s_or_b32 exec_lo, exec_lo, s27
	s_andn2_b32 s5, s24, exec_lo
	s_and_b32 s4, s4, exec_lo
	s_andn2_b32 s6, s21, exec_lo
	s_and_b32 s7, s26, exec_lo
	s_or_b32 s24, s5, s4
	s_or_b32 s4, s6, s7
.LBB8_365:
	s_or_b32 exec_lo, exec_lo, s25
	s_andn2_b32 s5, s22, exec_lo
	s_and_b32 s6, s24, exec_lo
	s_andn2_b32 s7, s21, exec_lo
	s_and_b32 s4, s4, exec_lo
	s_or_b32 s22, s5, s6
	s_or_b32 s21, s7, s4
.LBB8_366:
	s_or_b32 exec_lo, exec_lo, s23
	s_andn2_b32 s4, s86, exec_lo
	s_and_b32 s5, s22, exec_lo
	s_andn2_b32 s6, s82, exec_lo
	s_and_b32 s7, s21, exec_lo
	s_or_b32 s86, s4, s5
	s_or_b32 s5, s6, s7
.LBB8_367:
	s_or_b32 exec_lo, exec_lo, s49
	s_andn2_b32 s4, s28, exec_lo
	s_and_b32 s6, s86, exec_lo
	s_andn2_b32 s7, s82, exec_lo
	s_and_b32 s5, s5, exec_lo
	s_or_b32 s21, s4, s6
	s_or_b32 s82, s7, s5
	s_andn2_b32 s104, s104, exec_lo
	s_or_b32 exec_lo, exec_lo, s48
	s_and_saveexec_b32 s4, s104
	s_cbranch_execz .LBB8_373
.LBB8_368:
	v_add_nc_u32_e32 v1, 1, v41
	v_lshl_add_u32 v0, v41, 3, 0x8020
	v_mov_b32_e32 v2, 0x8020
	buffer_store_dword v1, v2, s[0:3], 0 offen
	s_mov_b32 s5, exec_lo
	v_readlane_b32 s6, v45, 0
	s_and_b32 s6, s5, s6
	s_xor_b32 s5, s6, s5
	s_mov_b32 exec_lo, s6
	s_cbranch_execz .LBB8_370
; %bb.369:
	v_mov_b32_e32 v1, 1
	v_mov_b32_e32 v2, 3
	buffer_store_dword v1, v0, s[0:3], 0 offen offset:12
	buffer_store_dword v2, v0, s[0:3], 0 offen offset:8
                                        ; implicit-def: $vgpr0
.LBB8_370:
	s_andn2_saveexec_b32 s5, s5
	s_cbranch_execz .LBB8_372
; %bb.371:
	v_mov_b32_e32 v1, 0
	buffer_store_dword v1, v0, s[0:3], 0 offen offset:12
	buffer_store_dword v1, v0, s[0:3], 0 offen offset:8
.LBB8_372:
	s_or_b32 exec_lo, exec_lo, s5
	s_or_b32 s82, s82, exec_lo
.LBB8_373:
	s_or_b32 exec_lo, exec_lo, s4
	s_mov_b32 s4, 0
	s_mov_b32 s5, 0
	;; [unrolled: 1-line block ×3, first 2 shown]
	s_and_saveexec_b32 s22, s82
	s_cbranch_execz .LBB8_401
; %bb.374:
	v_mov_b32_e32 v0, 0x8020
	s_waitcnt_vscnt null, 0x0
	s_barrier
	buffer_gl0_inv
	s_mov_b32 s23, s21
	buffer_load_dword v5, v0, s[0:3], 0 offen
	v_cndmask_b32_e64 v0, 0, 1, s83
	s_mov_b32 s4, exec_lo
	v_lshl_or_b32 v0, v62, 1, v0
	v_ashrrev_i32_e32 v1, 31, v0
	v_lshlrev_b64 v[1:2], 2, v[0:1]
	v_add_co_u32 v3, vcc_lo, s44, v1
	v_add_co_ci_u32_e64 v4, null, s45, v2, vcc_lo
	s_waitcnt vmcnt(0)
	v_sub_nc_u32_e32 v6, v5, v41
	global_store_dword v[3:4], v6, off
	v_cmpx_gt_i32_e32 1, v6
	s_xor_b32 s24, exec_lo, s4
	s_cbranch_execz .LBB8_376
; %bb.375:
	s_add_u32 s8, s84, 0x58
	s_addc_u32 s9, s85, 0
	s_getpc_b64 s[4:5]
	s_add_u32 s4, s4, .str.13@rel32@lo+4
	s_addc_u32 s5, s5, .str.13@rel32@hi+12
	s_getpc_b64 s[6:7]
	s_add_u32 s6, s6, .str.1@rel32@lo+4
	s_addc_u32 s7, s7, .str.1@rel32@hi+12
	s_getpc_b64 s[10:11]
	s_add_u32 s10, s10, __PRETTY_FUNCTION__._Z15factorFromTruthPKiS0_PyPiS2_S2_PKjS4_S0_S4_i@rel32@lo+4
	s_addc_u32 s11, s11, __PRETTY_FUNCTION__._Z15factorFromTruthPKiS0_PyPiS2_S2_PKjS4_S0_S4_i@rel32@hi+12
	v_mov_b32_e32 v0, s4
	v_mov_b32_e32 v1, s5
	;; [unrolled: 1-line block ×7, first 2 shown]
	s_getpc_b64 s[12:13]
	s_add_u32 s12, s12, __assert_fail@rel32@lo+4
	s_addc_u32 s13, s13, __assert_fail@rel32@hi+12
	s_swappc_b64 s[30:31], s[12:13]
	s_or_b32 s23, s21, exec_lo
                                        ; implicit-def: $vgpr1_vgpr2
                                        ; implicit-def: $vgpr5
                                        ; implicit-def: $vgpr41
                                        ; implicit-def: $vgpr0
                                        ; implicit-def: $vgpr43
                                        ; implicit-def: $vgpr60
.LBB8_376:
	s_or_saveexec_b32 s24, s24
	s_mov_b32 s4, 0
	s_mov_b32 s5, 0
	s_mov_b32 s8, 0
	s_xor_b32 exec_lo, exec_lo, s24
	s_cbranch_execz .LBB8_400
; %bb.377:
	v_add_co_u32 v1, vcc_lo, s42, v1
	v_add_co_ci_u32_e64 v2, null, s43, v2, vcc_lo
	s_mov_b32 s4, s23
	s_mov_b32 s5, exec_lo
	global_load_dword v3, v[1:2], off
	s_waitcnt vmcnt(0)
	v_cmpx_ne_u32_e32 -1, v3
	s_xor_b32 s25, exec_lo, s5
	s_cbranch_execz .LBB8_379
; %bb.378:
	s_add_u32 s8, s84, 0x58
	s_addc_u32 s9, s85, 0
	s_getpc_b64 s[4:5]
	s_add_u32 s4, s4, .str.11@rel32@lo+4
	s_addc_u32 s5, s5, .str.11@rel32@hi+12
	s_getpc_b64 s[6:7]
	s_add_u32 s6, s6, .str.1@rel32@lo+4
	s_addc_u32 s7, s7, .str.1@rel32@hi+12
	s_getpc_b64 s[10:11]
	s_add_u32 s10, s10, __PRETTY_FUNCTION__._Z15factorFromTruthPKiS0_PyPiS2_S2_PKjS4_S0_S4_i@rel32@lo+4
	s_addc_u32 s11, s11, __PRETTY_FUNCTION__._Z15factorFromTruthPKiS0_PyPiS2_S2_PKjS4_S0_S4_i@rel32@hi+12
	v_mov_b32_e32 v0, s4
	v_mov_b32_e32 v1, s5
	;; [unrolled: 1-line block ×7, first 2 shown]
	s_getpc_b64 s[12:13]
	s_add_u32 s12, s12, __assert_fail@rel32@lo+4
	s_addc_u32 s13, s13, __assert_fail@rel32@hi+12
	s_swappc_b64 s[30:31], s[12:13]
	s_or_b32 s4, s23, exec_lo
                                        ; implicit-def: $vgpr1_vgpr2
                                        ; implicit-def: $vgpr5
                                        ; implicit-def: $vgpr41
                                        ; implicit-def: $vgpr0
                                        ; implicit-def: $vgpr43
                                        ; implicit-def: $vgpr60
.LBB8_379:
	s_or_saveexec_b32 s5, s25
	s_mov_b32 s6, 0
	s_mov_b32 s7, 0
	;; [unrolled: 1-line block ×3, first 2 shown]
	s_xor_b32 exec_lo, exec_lo, s5
	s_cbranch_execz .LBB8_399
; %bb.380:
	v_mov_b32_e32 v6, 0
	s_mov_b32 s10, -1
	s_mov_b32 s8, 0
	s_mov_b32 s7, exec_lo
	global_store_dword v[1:2], v6, off
	v_cmpx_gt_i32_e64 v5, v41
	s_cbranch_execz .LBB8_396
; %bb.381:
	v_lshlrev_b32_e32 v1, 3, v43
	v_lshlrev_b32_e32 v2, 3, v60
	s_lshl_b32 s11, s102, 2
	s_mov_b32 s10, 0
	s_add_i32 s11, s11, -1
                                        ; implicit-def: $sgpr9
                                        ; implicit-def: $sgpr8
	v_sub_nc_u32_e32 v1, v1, v2
	v_add3_u32 v7, 0x8020, v1, 8
	v_mov_b32_e32 v1, 0
	s_branch .LBB8_383
.LBB8_382:                              ;   in Loop: Header=BB8_383 Depth=1
	s_or_b32 exec_lo, exec_lo, s14
	s_xor_b32 s13, s13, -1
	s_xor_b32 s12, s12, -1
	s_and_b32 s14, exec_lo, s16
	s_or_b32 s10, s14, s10
	s_andn2_b32 s8, s8, exec_lo
	s_and_b32 s13, s13, exec_lo
	s_andn2_b32 s9, s9, exec_lo
	s_and_b32 s12, s12, exec_lo
	s_or_b32 s8, s8, s13
	s_or_b32 s9, s9, s12
	s_andn2_b32 exec_lo, exec_lo, s10
	s_cbranch_execz .LBB8_393
.LBB8_383:                              ; =>This Inner Loop Header: Depth=1
	s_mov_b32 s15, -1
	s_mov_b32 s14, exec_lo
                                        ; implicit-def: $sgpr12
                                        ; implicit-def: $sgpr13
	v_cmpx_eq_u32_e32 8, v1
	s_cbranch_execz .LBB8_391
; %bb.384:                              ;   in Loop: Header=BB8_383 Depth=1
	s_mov_b32 s13, exec_lo
	s_mov_b32 s12, exec_lo
	v_mbcnt_lo_u32_b32 v1, s13, 0
                                        ; implicit-def: $vgpr2
	v_cmpx_eq_u32_e32 0, v1
	s_cbranch_execz .LBB8_386
; %bb.385:                              ;   in Loop: Header=BB8_383 Depth=1
	s_bcnt1_i32_b32 s13, s13
	v_mov_b32_e32 v2, s13
	global_atomic_add v2, v6, v2, s[46:47] glc
.LBB8_386:                              ;   in Loop: Header=BB8_383 Depth=1
	s_or_b32 exec_lo, exec_lo, s12
	s_waitcnt vmcnt(0)
	v_readfirstlane_b32 s12, v2
	s_mov_b32 s16, 0
	s_mov_b32 s13, 0
	s_mov_b32 s15, exec_lo
	v_add_nc_u32_e32 v2, s12, v1
	s_mov_b32 s12, -1
	v_cmpx_gt_i32_e64 s11, v2
	s_cbranch_execz .LBB8_390
; %bb.387:                              ;   in Loop: Header=BB8_383 Depth=1
	v_ashrrev_i32_e32 v3, 31, v2
	s_mov_b32 s12, exec_lo
	v_lshlrev_b64 v[3:4], 2, v[2:3]
	v_add_co_u32 v3, vcc_lo, s42, v3
	v_add_co_ci_u32_e64 v4, null, s43, v4, vcc_lo
	global_load_dword v1, v[3:4], off
	s_waitcnt vmcnt(0)
	v_cmpx_eq_u32_e32 -1, v1
	s_cbranch_execz .LBB8_389
; %bb.388:                              ;   in Loop: Header=BB8_383 Depth=1
	v_ashrrev_i32_e32 v1, 31, v0
	s_mov_b32 s16, exec_lo
	v_lshlrev_b64 v[0:1], 2, v[0:1]
	v_add_co_u32 v0, vcc_lo, s42, v0
	v_add_co_ci_u32_e64 v1, null, s43, v1, vcc_lo
	global_store_dword v[0:1], v2, off
	global_store_dword v[3:4], v6, off
.LBB8_389:                              ;   in Loop: Header=BB8_383 Depth=1
	s_or_b32 exec_lo, exec_lo, s12
	s_mov_b32 s13, exec_lo
	s_xor_b32 s12, exec_lo, -1
	s_and_b32 s16, s16, exec_lo
.LBB8_390:                              ;   in Loop: Header=BB8_383 Depth=1
	s_or_b32 exec_lo, exec_lo, s15
	v_mov_b32_e32 v1, 0
	v_mov_b32_e32 v0, v2
	s_orn2_b32 s15, s16, exec_lo
.LBB8_391:                              ;   in Loop: Header=BB8_383 Depth=1
	s_or_b32 exec_lo, exec_lo, s14
	s_mov_b32 s16, -1
	s_and_saveexec_b32 s14, s15
	s_cbranch_execz .LBB8_382
; %bb.392:                              ;   in Loop: Header=BB8_383 Depth=1
	s_clause 0x1
	buffer_load_dword v2, v7, s[0:3], 0 offen
	buffer_load_dword v3, v7, s[0:3], 0 offen offset:4
	v_lshl_add_u32 v8, v0, 3, v1
	v_add_nc_u32_e32 v41, 1, v41
	v_add_nc_u32_e32 v1, 1, v1
	;; [unrolled: 1-line block ×3, first 2 shown]
	s_andn2_b32 s13, s13, exec_lo
	v_ashrrev_i32_e32 v9, 31, v8
	s_andn2_b32 s12, s12, exec_lo
	v_lshlrev_b64 v[8:9], 3, v[8:9]
	v_add_co_u32 v8, vcc_lo, s40, v8
	v_add_co_ci_u32_e64 v9, null, s41, v9, vcc_lo
	v_cmp_ge_i32_e32 vcc_lo, v41, v5
	s_orn2_b32 s16, vcc_lo, exec_lo
	s_waitcnt vmcnt(0)
	global_store_dwordx2 v[8:9], v[2:3], off
	s_branch .LBB8_382
.LBB8_393:
	s_or_b32 exec_lo, exec_lo, s10
	s_mov_b32 s10, 0
	s_mov_b32 s12, -1
	s_mov_b32 s11, 0
	s_and_saveexec_b32 s13, s9
	s_xor_b32 s9, exec_lo, s13
; %bb.394:
	s_mov_b32 s11, exec_lo
	s_xor_b32 s12, exec_lo, -1
	s_and_b32 s10, s8, exec_lo
; %bb.395:
	s_or_b32 exec_lo, exec_lo, s9
	s_and_b32 s9, s12, exec_lo
	s_and_b32 s8, s11, exec_lo
	s_orn2_b32 s10, s10, exec_lo
.LBB8_396:
	s_or_b32 exec_lo, exec_lo, s7
	s_and_saveexec_b32 s7, s10
	s_cbranch_execz .LBB8_398
; %bb.397:
	s_mov_b32 s6, exec_lo
	s_andn2_b32 s8, s8, exec_lo
	s_waitcnt_vscnt null, 0x0
	s_barrier
	buffer_gl0_inv
.LBB8_398:
	s_or_b32 exec_lo, exec_lo, s7
	s_and_b32 s9, s9, exec_lo
	s_and_b32 s7, s8, exec_lo
	;; [unrolled: 1-line block ×3, first 2 shown]
.LBB8_399:
	s_or_b32 exec_lo, exec_lo, s5
	s_andn2_b32 s5, s23, exec_lo
	s_and_b32 s4, s4, exec_lo
	s_and_b32 s8, s9, exec_lo
	s_or_b32 s23, s5, s4
	s_and_b32 s5, s7, exec_lo
	s_and_b32 s4, s6, exec_lo
.LBB8_400:
	s_or_b32 exec_lo, exec_lo, s24
	s_andn2_b32 s6, s21, exec_lo
	s_and_b32 s7, s23, exec_lo
	s_and_b32 s5, s5, exec_lo
	s_or_b32 s21, s6, s7
	s_and_b32 s6, s8, exec_lo
	s_and_b32 s4, s4, exec_lo
.LBB8_401:
	s_or_b32 exec_lo, exec_lo, s22
	s_andn2_b32 s7, s28, exec_lo
	s_and_b32 s8, s21, exec_lo
	s_and_b32 s6, s6, exec_lo
	s_or_b32 s28, s7, s8
	s_and_b32 s5, s5, exec_lo
	s_and_b32 s4, s4, exec_lo
.LBB8_402:
	s_or_b32 exec_lo, exec_lo, s103
	s_andn2_b32 s7, s39, exec_lo
	s_and_b32 s8, s28, exec_lo
	s_andn2_b32 s34, s34, exec_lo
	s_or_b32 s39, s7, s8
	s_and_b32 s7, s6, exec_lo
	s_and_b32 s6, s5, exec_lo
	;; [unrolled: 1-line block ×3, first 2 shown]
.LBB8_403:
	s_or_b32 exec_lo, exec_lo, s96
	s_andn2_b32 s4, s54, exec_lo
	s_and_b32 s8, s39, exec_lo
	s_and_b32 s7, s7, exec_lo
	s_or_b32 s54, s4, s8
	s_and_b32 s8, s34, exec_lo
	s_and_b32 s6, s6, exec_lo
	;; [unrolled: 1-line block ×3, first 2 shown]
.LBB8_404:
	s_or_b32 exec_lo, exec_lo, s52
	s_andn2_b32 s5, s100, exec_lo
	s_and_b32 s9, s54, exec_lo
	s_and_b32 s8, s8, exec_lo
	s_or_b32 s100, s5, s9
	s_and_b32 s7, s7, exec_lo
	s_and_b32 s5, s6, exec_lo
	;; [unrolled: 1-line block ×3, first 2 shown]
.LBB8_405:
	s_or_b32 exec_lo, exec_lo, s101
	s_and_b32 s21, s100, exec_lo
	s_and_b32 s22, s8, exec_lo
	;; [unrolled: 1-line block ×4, first 2 shown]
	s_orn2_b32 s5, s23, exec_lo
.LBB8_406:
	s_or_b32 exec_lo, exec_lo, s87
	s_and_saveexec_b32 s6, s5
	s_or_b32 exec_lo, exec_lo, s6
	s_and_saveexec_b32 s5, s4
	s_xor_b32 s23, exec_lo, s5
	s_cbranch_execnz .LBB8_411
; %bb.407:
	s_or_b32 exec_lo, exec_lo, s23
	s_and_saveexec_b32 s4, s24
	s_xor_b32 s23, exec_lo, s4
	s_cbranch_execnz .LBB8_412
.LBB8_408:
	s_or_b32 exec_lo, exec_lo, s23
	s_and_saveexec_b32 s23, s22
	s_cbranch_execnz .LBB8_413
.LBB8_409:
	s_or_b32 exec_lo, exec_lo, s23
	s_and_saveexec_b32 s4, s21
	s_cbranch_execnz .LBB8_414
.LBB8_410:
	s_endpgm
.LBB8_411:
	s_add_u32 s8, s84, 0x58
	s_addc_u32 s9, s85, 0
	s_getpc_b64 s[4:5]
	s_add_u32 s4, s4, .str.11@rel32@lo+4
	s_addc_u32 s5, s5, .str.11@rel32@hi+12
	s_getpc_b64 s[6:7]
	s_add_u32 s6, s6, .str.1@rel32@lo+4
	s_addc_u32 s7, s7, .str.1@rel32@hi+12
	s_getpc_b64 s[10:11]
	s_add_u32 s10, s10, __PRETTY_FUNCTION__._Z15factorFromTruthPKiS0_PyPiS2_S2_PKjS4_S0_S4_i@rel32@lo+4
	s_addc_u32 s11, s11, __PRETTY_FUNCTION__._Z15factorFromTruthPKiS0_PyPiS2_S2_PKjS4_S0_S4_i@rel32@hi+12
	v_mov_b32_e32 v0, s4
	v_mov_b32_e32 v1, s5
	;; [unrolled: 1-line block ×7, first 2 shown]
	s_getpc_b64 s[12:13]
	s_add_u32 s12, s12, __assert_fail@rel32@lo+4
	s_addc_u32 s13, s13, __assert_fail@rel32@hi+12
	s_swappc_b64 s[30:31], s[12:13]
	s_or_b32 s21, s21, exec_lo
	s_or_b32 exec_lo, exec_lo, s23
	s_and_saveexec_b32 s4, s24
	s_xor_b32 s23, exec_lo, s4
	s_cbranch_execz .LBB8_408
.LBB8_412:
	s_add_u32 s8, s84, 0x58
	s_addc_u32 s9, s85, 0
	s_getpc_b64 s[4:5]
	s_add_u32 s4, s4, .str.14@rel32@lo+4
	s_addc_u32 s5, s5, .str.14@rel32@hi+12
	s_getpc_b64 s[6:7]
	s_add_u32 s6, s6, .str.1@rel32@lo+4
	s_addc_u32 s7, s7, .str.1@rel32@hi+12
	s_getpc_b64 s[10:11]
	s_add_u32 s10, s10, __PRETTY_FUNCTION__._Z15factorFromTruthPKiS0_PyPiS2_S2_PKjS4_S0_S4_i@rel32@lo+4
	s_addc_u32 s11, s11, __PRETTY_FUNCTION__._Z15factorFromTruthPKiS0_PyPiS2_S2_PKjS4_S0_S4_i@rel32@hi+12
	v_mov_b32_e32 v0, s4
	v_mov_b32_e32 v1, s5
	;; [unrolled: 1-line block ×7, first 2 shown]
	s_getpc_b64 s[12:13]
	s_add_u32 s12, s12, __assert_fail@rel32@lo+4
	s_addc_u32 s13, s13, __assert_fail@rel32@hi+12
	s_swappc_b64 s[30:31], s[12:13]
	s_or_b32 s21, s21, exec_lo
	s_or_b32 exec_lo, exec_lo, s23
	s_and_saveexec_b32 s23, s22
	s_cbranch_execz .LBB8_409
.LBB8_413:
	s_add_u32 s8, s84, 0x58
	s_addc_u32 s9, s85, 0
	s_getpc_b64 s[4:5]
	s_add_u32 s4, s4, .str.18@rel32@lo+4
	s_addc_u32 s5, s5, .str.18@rel32@hi+12
	s_getpc_b64 s[6:7]
	s_add_u32 s6, s6, .str.19@rel32@lo+4
	s_addc_u32 s7, s7, .str.19@rel32@hi+12
	s_getpc_b64 s[10:11]
	s_add_u32 s10, s10, __PRETTY_FUNCTION__._ZN7VecsMemIjLi8192EE6shrinkEi@rel32@lo+4
	s_addc_u32 s11, s11, __PRETTY_FUNCTION__._ZN7VecsMemIjLi8192EE6shrinkEi@rel32@hi+12
	v_mov_b32_e32 v0, s4
	v_mov_b32_e32 v1, s5
	;; [unrolled: 1-line block ×7, first 2 shown]
	s_getpc_b64 s[12:13]
	s_add_u32 s12, s12, __assert_fail@rel32@lo+4
	s_addc_u32 s13, s13, __assert_fail@rel32@hi+12
	s_swappc_b64 s[30:31], s[12:13]
	s_or_b32 s21, s21, exec_lo
	s_or_b32 exec_lo, exec_lo, s23
	s_and_saveexec_b32 s4, s21
	s_cbranch_execz .LBB8_410
.LBB8_414:
	; divergent unreachable
	s_endpgm
	.section	.rodata,"a",@progbits
	.p2align	6, 0x0
	.amdhsa_kernel _Z15factorFromTruthPKiS0_PyPiS2_S2_PKjS4_S0_S4_i
		.amdhsa_group_segment_fixed_size 0
		.amdhsa_private_segment_fixed_size 35264
		.amdhsa_kernarg_size 344
		.amdhsa_user_sgpr_count 8
		.amdhsa_user_sgpr_private_segment_buffer 1
		.amdhsa_user_sgpr_dispatch_ptr 0
		.amdhsa_user_sgpr_queue_ptr 0
		.amdhsa_user_sgpr_kernarg_segment_ptr 1
		.amdhsa_user_sgpr_dispatch_id 0
		.amdhsa_user_sgpr_flat_scratch_init 1
		.amdhsa_user_sgpr_private_segment_size 0
		.amdhsa_wavefront_size32 1
		.amdhsa_uses_dynamic_stack 1
		.amdhsa_system_sgpr_private_segment_wavefront_offset 1
		.amdhsa_system_sgpr_workgroup_id_x 1
		.amdhsa_system_sgpr_workgroup_id_y 0
		.amdhsa_system_sgpr_workgroup_id_z 0
		.amdhsa_system_sgpr_workgroup_info 0
		.amdhsa_system_vgpr_workitem_id 0
		.amdhsa_next_free_vgpr 80
		.amdhsa_next_free_sgpr 105
		.amdhsa_reserve_vcc 1
		.amdhsa_reserve_flat_scratch 1
		.amdhsa_float_round_mode_32 0
		.amdhsa_float_round_mode_16_64 0
		.amdhsa_float_denorm_mode_32 3
		.amdhsa_float_denorm_mode_16_64 3
		.amdhsa_dx10_clamp 1
		.amdhsa_ieee_mode 1
		.amdhsa_fp16_overflow 0
		.amdhsa_workgroup_processor_mode 1
		.amdhsa_memory_ordered 1
		.amdhsa_forward_progress 1
		.amdhsa_shared_vgpr_count 0
		.amdhsa_exception_fp_ieee_invalid_op 0
		.amdhsa_exception_fp_denorm_src 0
		.amdhsa_exception_fp_ieee_div_zero 0
		.amdhsa_exception_fp_ieee_overflow 0
		.amdhsa_exception_fp_ieee_underflow 0
		.amdhsa_exception_fp_ieee_inexact 0
		.amdhsa_exception_int_div_zero 0
	.end_amdhsa_kernel
	.text
.Lfunc_end8:
	.size	_Z15factorFromTruthPKiS0_PyPiS2_S2_PKjS4_S0_S4_i, .Lfunc_end8-_Z15factorFromTruthPKiS0_PyPiS2_S2_PKjS4_S0_S4_i
                                        ; -- End function
	.set _Z15factorFromTruthPKiS0_PyPiS2_S2_PKjS4_S0_S4_i.num_vgpr, max(74, .L__assert_fail.num_vgpr, .L_ZN3sop13minatoIsopRecEPKjS1_iPNS_3SopEP7VecsMemIjLi8192EE.num_vgpr, .L_ZN3sop12sopFactorRecEPNS_3SopEiP7VecsMemIjLi8192EEPN8subgUtil4SubgILi256EEE.num_vgpr)
	.set _Z15factorFromTruthPKiS0_PyPiS2_S2_PKjS4_S0_S4_i.num_agpr, max(0, .L__assert_fail.num_agpr, .L_ZN3sop13minatoIsopRecEPKjS1_iPNS_3SopEP7VecsMemIjLi8192EE.num_agpr, .L_ZN3sop12sopFactorRecEPNS_3SopEiP7VecsMemIjLi8192EEPN8subgUtil4SubgILi256EEE.num_agpr)
	.set _Z15factorFromTruthPKiS0_PyPiS2_S2_PKjS4_S0_S4_i.numbered_sgpr, max(105, .L__assert_fail.numbered_sgpr, .L_ZN3sop13minatoIsopRecEPKjS1_iPNS_3SopEP7VecsMemIjLi8192EE.numbered_sgpr, .L_ZN3sop12sopFactorRecEPNS_3SopEiP7VecsMemIjLi8192EEPN8subgUtil4SubgILi256EEE.numbered_sgpr)
	.set _Z15factorFromTruthPKiS0_PyPiS2_S2_PKjS4_S0_S4_i.num_named_barrier, max(0, .L__assert_fail.num_named_barrier, .L_ZN3sop13minatoIsopRecEPKjS1_iPNS_3SopEP7VecsMemIjLi8192EE.num_named_barrier, .L_ZN3sop12sopFactorRecEPNS_3SopEiP7VecsMemIjLi8192EEPN8subgUtil4SubgILi256EEE.num_named_barrier)
	.set _Z15factorFromTruthPKiS0_PyPiS2_S2_PKjS4_S0_S4_i.private_seg_size, 34928+max(.L__assert_fail.private_seg_size, .L_ZN3sop13minatoIsopRecEPKjS1_iPNS_3SopEP7VecsMemIjLi8192EE.private_seg_size, .L_ZN3sop12sopFactorRecEPNS_3SopEiP7VecsMemIjLi8192EEPN8subgUtil4SubgILi256EEE.private_seg_size)
	.set _Z15factorFromTruthPKiS0_PyPiS2_S2_PKjS4_S0_S4_i.uses_vcc, or(1, .L__assert_fail.uses_vcc, .L_ZN3sop13minatoIsopRecEPKjS1_iPNS_3SopEP7VecsMemIjLi8192EE.uses_vcc, .L_ZN3sop12sopFactorRecEPNS_3SopEiP7VecsMemIjLi8192EEPN8subgUtil4SubgILi256EEE.uses_vcc)
	.set _Z15factorFromTruthPKiS0_PyPiS2_S2_PKjS4_S0_S4_i.uses_flat_scratch, or(1, .L__assert_fail.uses_flat_scratch, .L_ZN3sop13minatoIsopRecEPKjS1_iPNS_3SopEP7VecsMemIjLi8192EE.uses_flat_scratch, .L_ZN3sop12sopFactorRecEPNS_3SopEiP7VecsMemIjLi8192EEPN8subgUtil4SubgILi256EEE.uses_flat_scratch)
	.set _Z15factorFromTruthPKiS0_PyPiS2_S2_PKjS4_S0_S4_i.has_dyn_sized_stack, or(0, .L__assert_fail.has_dyn_sized_stack, .L_ZN3sop13minatoIsopRecEPKjS1_iPNS_3SopEP7VecsMemIjLi8192EE.has_dyn_sized_stack, .L_ZN3sop12sopFactorRecEPNS_3SopEiP7VecsMemIjLi8192EEPN8subgUtil4SubgILi256EEE.has_dyn_sized_stack)
	.set _Z15factorFromTruthPKiS0_PyPiS2_S2_PKjS4_S0_S4_i.has_recursion, or(1, .L__assert_fail.has_recursion, .L_ZN3sop13minatoIsopRecEPKjS1_iPNS_3SopEP7VecsMemIjLi8192EE.has_recursion, .L_ZN3sop12sopFactorRecEPNS_3SopEiP7VecsMemIjLi8192EEPN8subgUtil4SubgILi256EEE.has_recursion)
	.set _Z15factorFromTruthPKiS0_PyPiS2_S2_PKjS4_S0_S4_i.has_indirect_call, or(0, .L__assert_fail.has_indirect_call, .L_ZN3sop13minatoIsopRecEPKjS1_iPNS_3SopEP7VecsMemIjLi8192EE.has_indirect_call, .L_ZN3sop12sopFactorRecEPNS_3SopEiP7VecsMemIjLi8192EEPN8subgUtil4SubgILi256EEE.has_indirect_call)
	.section	.AMDGPU.csdata,"",@progbits
; Kernel info:
; codeLenInByte = 16076
; TotalNumSgprs: 107
; NumVgprs: 80
; ScratchSize: 35264
; MemoryBound: 0
; FloatMode: 240
; IeeeMode: 1
; LDSByteSize: 0 bytes/workgroup (compile time only)
; SGPRBlocks: 0
; VGPRBlocks: 9
; NumSGPRsForWavesPerEU: 107
; NumVGPRsForWavesPerEU: 80
; Occupancy: 12
; WaveLimiterHint : 1
; COMPUTE_PGM_RSRC2:SCRATCH_EN: 1
; COMPUTE_PGM_RSRC2:USER_SGPR: 8
; COMPUTE_PGM_RSRC2:TRAP_HANDLER: 0
; COMPUTE_PGM_RSRC2:TGID_X_EN: 1
; COMPUTE_PGM_RSRC2:TGID_Y_EN: 0
; COMPUTE_PGM_RSRC2:TGID_Z_EN: 0
; COMPUTE_PGM_RSRC2:TIDIG_COMP_CNT: 0
	.text
	.p2alignl 6, 3214868480
	.fill 48, 4, 3214868480
	.section	.AMDGPU.gpr_maximums,"",@progbits
	.set amdgpu.max_num_vgpr, 80
	.set amdgpu.max_num_agpr, 0
	.set amdgpu.max_num_sgpr, 83
	.text
	.type	__const.__assert_fail.fmt,@object ; @__const.__assert_fail.fmt
	.section	.rodata.str1.16,"aMS",@progbits,1
	.p2align	4, 0x0
__const.__assert_fail.fmt:
	.asciz	"%s:%u: %s: Device-side assertion `%s' failed.\n"
	.size	__const.__assert_fail.fmt, 47

	.type	.str,@object                    ; @.str
	.section	.rodata.str1.1,"aMS",@progbits,1
.str:
	.asciz	"lit0 < lit1"
	.size	.str, 12

	.type	.str.1,@object                  ; @.str.1
.str.1:
	.asciz	"/root/src/amdgpu-assembly/repos/zjin-lcf__HeCBench/src/logic-rewrite-hip/refactor_core.cu"
	.size	.str.1, 90

	.type	__PRETTY_FUNCTION__._Z12evaluateSubgiPiPKiiiiS1_PKyPKjiPKN8subgUtil4SubgILi256EEE,@object ; @__PRETTY_FUNCTION__._Z12evaluateSubgiPiPKiiiiS1_PKyPKjiPKN8subgUtil4SubgILi256EEE
__PRETTY_FUNCTION__._Z12evaluateSubgiPiPKiiiiS1_PKyPKjiPKN8subgUtil4SubgILi256EEE:
	.asciz	"int evaluateSubg(int, int *, const int *, int, int, int, const int *, const uint64 *, const uint32 *, int, const subgUtil::Subg<SUBG_CAP> *)"
	.size	__PRETTY_FUNCTION__._Z12evaluateSubgiPiPKiiiiS1_PKyPKjiPKN8subgUtil4SubgILi256EEE, 141

	.type	.str.2,@object                  ; @.str.2
.str.2:
	.asciz	"id0 < i && id1 < i"
	.size	.str.2, 19

	.type	.str.7,@object                  ; @.str.7
.str.7:
	.asciz	"endIdx - startIdx == nWords"
	.size	.str.7, 28

	.type	__PRETTY_FUNCTION__._Z8resynCutPKiS0_S0_S0_PKyPKjiS0_PyPiS6_S6_PjS0_S4_ii,@object ; @__PRETTY_FUNCTION__._Z8resynCutPKiS0_S0_S0_PKyPKjiS0_PyPiS6_S6_PjS0_S4_ii
__PRETTY_FUNCTION__._Z8resynCutPKiS0_S0_S0_PKyPKjiS0_PyPiS6_S6_PjS0_S4_ii:
	.asciz	"void resynCut(const int *, const int *, const int *, const int *, const uint64 *, const uint32 *, int, const int *, uint64 *, int *, int *, int *, unsigned int *, const int *, const unsigned int *, int, int)"
	.size	__PRETTY_FUNCTION__._Z8resynCutPKiS0_S0_S0_PKyPKjiS0_PyPiS6_S6_PjS0_S4_ii, 208

	.type	.str.8,@object                  ; @.str.8
.str.8:
	.asciz	"vSubgLens[idx] > 0"
	.size	.str.8, 19

	.type	.str.9,@object                  ; @.str.9
.str.9:
	.asciz	"vSubgLinks[idx] == -1"
	.size	.str.9, 22

	.type	.str.10,@object                 ; @.str.10
.str.10:
	.asciz	"currRowIdx < 2 * nResyn - 1"
	.size	.str.10, 28

	.type	.str.11,@object                 ; @.str.11
.str.11:
	.asciz	"vSubgLinks[currRowIdx] == -1"
	.size	.str.11, 29

	.type	.str.12,@object                 ; @.str.12
.str.12:
	.asciz	"truthEndIdx - truthStartIdx == dUtils::TruthWordNum(nVars)"
	.size	.str.12, 59

	.type	__PRETTY_FUNCTION__._Z15factorFromTruthPKiS0_PyPiS2_S2_PKjS4_S0_S4_i,@object ; @__PRETTY_FUNCTION__._Z15factorFromTruthPKiS0_PyPiS2_S2_PKjS4_S0_S4_i
__PRETTY_FUNCTION__._Z15factorFromTruthPKiS0_PyPiS2_S2_PKjS4_S0_S4_i:
	.asciz	"void factorFromTruth(const int *, const int *, uint64 *, int *, int *, int *, const unsigned int *, const unsigned int *, const int *, const unsigned int *, int)"
	.size	__PRETTY_FUNCTION__._Z15factorFromTruthPKiS0_PyPiS2_S2_PKjS4_S0_S4_i, 162

	.type	.str.13,@object                 ; @.str.13
.str.13:
	.asciz	"vSubgLens[currRowIdx] > 0"
	.size	.str.13, 26

	.type	.str.14,@object                 ; @.str.14
.str.14:
	.asciz	"currRowIdx < 4 * nResyn - 1"
	.size	.str.14, 28

	.type	.str.15,@object                 ; @.str.15
.str.15:
	.asciz	"truthUtil::truthEqual(puTruth, pResult, nVars)"
	.size	.str.15, 47

	.type	.str.16,@object                 ; @.str.16
.str.16:
	.asciz	"/root/src/amdgpu-assembly/repos/zjin-lcf__HeCBench/src/logic-rewrite-hip/minato_isop.cuh"
	.size	.str.16, 89

	.type	__PRETTY_FUNCTION__._ZN3sop10minatoIsopEPKjiP7VecsMemIjLi8192EE,@object ; @__PRETTY_FUNCTION__._ZN3sop10minatoIsopEPKjiP7VecsMemIjLi8192EE
__PRETTY_FUNCTION__._ZN3sop10minatoIsopEPKjiP7VecsMemIjLi8192EE:
	.asciz	"void sop::minatoIsop(const unsigned int *, int, VecsMem<unsigned int, ISOP_FACTOR_MEM_CAP> *)"
	.size	__PRETTY_FUNCTION__._ZN3sop10minatoIsopEPKjiP7VecsMemIjLi8192EE, 94

	.type	.str.17,@object                 ; @.str.17
.str.17:
	.asciz	"pTemp != NULL"
	.size	.str.17, 14

	.type	.str.18,@object                 ; @.str.18
.str.18:
	.asciz	"nSize >= nSizeNew"
	.size	.str.18, 18

	.type	.str.19,@object                 ; @.str.19
.str.19:
	.asciz	"/root/src/amdgpu-assembly/repos/zjin-lcf__HeCBench/src/logic-rewrite-hip/vectors.cuh"
	.size	.str.19, 85

	.type	__PRETTY_FUNCTION__._ZN7VecsMemIjLi8192EE6shrinkEi,@object ; @__PRETTY_FUNCTION__._ZN7VecsMemIjLi8192EE6shrinkEi
__PRETTY_FUNCTION__._ZN7VecsMemIjLi8192EE6shrinkEi:
	.asciz	"void VecsMem<unsigned int, 8192>::shrink(int) [T = unsigned int, nCap = 8192]"
	.size	__PRETTY_FUNCTION__._ZN7VecsMemIjLi8192EE6shrinkEi, 78

	.type	__PRETTY_FUNCTION__._ZN3sop13minatoIsopRecEPKjS1_iPNS_3SopEP7VecsMemIjLi8192EE,@object ; @__PRETTY_FUNCTION__._ZN3sop13minatoIsopRecEPKjS1_iPNS_3SopEP7VecsMemIjLi8192EE
__PRETTY_FUNCTION__._ZN3sop13minatoIsopRecEPKjS1_iPNS_3SopEP7VecsMemIjLi8192EE:
	.asciz	"unsigned int *sop::minatoIsopRec(const unsigned int *, const unsigned int *, int, Sop *, VecsMem<unsigned int, ISOP_FACTOR_MEM_CAP> *)"
	.size	__PRETTY_FUNCTION__._ZN3sop13minatoIsopRecEPKjS1_iPNS_3SopEP7VecsMemIjLi8192EE, 135

	.type	.str.20,@object                 ; @.str.20
.str.20:
	.asciz	"pcRes->pCubes != NULL"
	.size	.str.20, 22

	.type	.str.21,@object                 ; @.str.21
.str.21:
	.asciz	"Var >= 0"
	.size	.str.21, 9

	.type	.str.23,@object                 ; @.str.23
.str.23:
	.asciz	"k == pcRes->nCubes"
	.size	.str.23, 19

	.type	__const._ZN3sop14minatoIsop5RecEjjiPNS_3SopEP7VecsMemIjLi8192EE.uMasks,@object ; @__const._ZN3sop14minatoIsop5RecEjjiPNS_3SopEP7VecsMemIjLi8192EE.uMasks
	.section	.rodata,"a",@progbits
	.p2align	4, 0x0
__const._ZN3sop14minatoIsop5RecEjjiPNS_3SopEP7VecsMemIjLi8192EE.uMasks:
	.long	2863311530                      ; 0xaaaaaaaa
	.long	3435973836                      ; 0xcccccccc
	;; [unrolled: 1-line block ×5, first 2 shown]
	.size	__const._ZN3sop14minatoIsop5RecEjjiPNS_3SopEP7VecsMemIjLi8192EE.uMasks, 20

	.type	__PRETTY_FUNCTION__._ZN3sop14minatoIsop5RecEjjiPNS_3SopEP7VecsMemIjLi8192EE,@object ; @__PRETTY_FUNCTION__._ZN3sop14minatoIsop5RecEjjiPNS_3SopEP7VecsMemIjLi8192EE
	.section	.rodata.str1.1,"aMS",@progbits,1
__PRETTY_FUNCTION__._ZN3sop14minatoIsop5RecEjjiPNS_3SopEP7VecsMemIjLi8192EE:
	.asciz	"unsigned int sop::minatoIsop5Rec(unsigned int, unsigned int, int, Sop *, VecsMem<unsigned int, ISOP_FACTOR_MEM_CAP> *)"
	.size	__PRETTY_FUNCTION__._ZN3sop14minatoIsop5RecEjjiPNS_3SopEP7VecsMemIjLi8192EE, 119

	.type	.str.27,@object                 ; @.str.27
.str.27:
	.asciz	"(uOn & ~uOnDc) == 0"
	.size	.str.27, 20

	.type	.str.28,@object                 ; @.str.28
.str.28:
	.asciz	"try to decrease K in refactor !!!\n"
	.size	.str.28, 35

	.type	.str.29,@object                 ; @.str.29
.str.29:
	.asciz	"0"
	.size	.str.29, 2

	.type	__PRETTY_FUNCTION__._ZN7VecsMemIjLi8192EE5fetchEi,@object ; @__PRETTY_FUNCTION__._ZN7VecsMemIjLi8192EE5fetchEi
__PRETTY_FUNCTION__._ZN7VecsMemIjLi8192EE5fetchEi:
	.asciz	"T *VecsMem<unsigned int, 8192>::fetch(int) [T = unsigned int, nCap = 8192]"
	.size	__PRETTY_FUNCTION__._ZN7VecsMemIjLi8192EE5fetchEi, 75

	.type	.str.30,@object                 ; @.str.30
.str.30:
	.asciz	"nVars < 16"
	.size	.str.30, 11

	.type	.str.31,@object                 ; @.str.31
.str.31:
	.asciz	"/root/src/amdgpu-assembly/repos/zjin-lcf__HeCBench/src/logic-rewrite-hip/alg_factor.cuh"
	.size	.str.31, 88

	.type	__PRETTY_FUNCTION__._ZN3sop9sopFactorEPjiiPKiiP7VecsMemIjLi8192EEPN8subgUtil4SubgILi256EEE,@object ; @__PRETTY_FUNCTION__._ZN3sop9sopFactorEPjiiPKiiP7VecsMemIjLi8192EEPN8subgUtil4SubgILi256EEE
__PRETTY_FUNCTION__._ZN3sop9sopFactorEPjiiPKiiP7VecsMemIjLi8192EEPN8subgUtil4SubgILi256EEE:
	.asciz	"void sop::sopFactor(unsigned int *, int, int, const int *, int, VecsMem<unsigned int, ISOP_FACTOR_MEM_CAP> *, subgUtil::Subg<SUBG_CAP> *)"
	.size	__PRETTY_FUNCTION__._ZN3sop9sopFactorEPjiiPKiiP7VecsMemIjLi8192EEPN8subgUtil4SubgILi256EEE, 138

	.type	.str.32,@object                 ; @.str.32
.str.32:
	.asciz	"subg->nSize == nVars"
	.size	.str.32, 21

	.type	.str.33,@object                 ; @.str.33
.str.33:
	.asciz	"cSop->nCubes > 0"
	.size	.str.33, 17

	.type	__PRETTY_FUNCTION__._ZN3sop12sopFactorRecEPNS_3SopEiP7VecsMemIjLi8192EEPN8subgUtil4SubgILi256EEE,@object ; @__PRETTY_FUNCTION__._ZN3sop12sopFactorRecEPNS_3SopEiP7VecsMemIjLi8192EEPN8subgUtil4SubgILi256EEE
__PRETTY_FUNCTION__._ZN3sop12sopFactorRecEPNS_3SopEiP7VecsMemIjLi8192EEPN8subgUtil4SubgILi256EEE:
	.asciz	"int sop::sopFactorRec(Sop *, int, VecsMem<unsigned int, ISOP_FACTOR_MEM_CAP> *, subgUtil::Subg<SUBG_CAP> *)"
	.size	__PRETTY_FUNCTION__._ZN3sop12sopFactorRecEPNS_3SopEiP7VecsMemIjLi8192EEPN8subgUtil4SubgILi256EEE, 108

	.type	.str.34,@object                 ; @.str.34
.str.34:
	.asciz	"cQuo->nCubes > 0"
	.size	.str.34, 17

	.type	.str.35,@object                 ; @.str.35
.str.35:
	.asciz	"cResult->nCubes > 0"
	.size	.str.35, 20

	.type	__PRETTY_FUNCTION__._ZN3sop10sopDivisorEPNS_3SopES1_iP7VecsMemIjLi8192EE,@object ; @__PRETTY_FUNCTION__._ZN3sop10sopDivisorEPNS_3SopES1_iP7VecsMemIjLi8192EE
__PRETTY_FUNCTION__._ZN3sop10sopDivisorEPNS_3SopES1_iP7VecsMemIjLi8192EE:
	.asciz	"int sop::sopDivisor(Sop *, Sop *, int, VecsMem<unsigned int, ISOP_FACTOR_MEM_CAP> *)"
	.size	__PRETTY_FUNCTION__._ZN3sop10sopDivisorEPNS_3SopES1_iP7VecsMemIjLi8192EE, 85

	.type	.str.36,@object                 ; @.str.36
.str.36:
	.asciz	"uCube"
	.size	.str.36, 6

	.type	__PRETTY_FUNCTION__._ZN3sop23sopFactorTrivialCubeRecEjiiPN8subgUtil4SubgILi256EEE,@object ; @__PRETTY_FUNCTION__._ZN3sop23sopFactorTrivialCubeRecEjiiPN8subgUtil4SubgILi256EEE
__PRETTY_FUNCTION__._ZN3sop23sopFactorTrivialCubeRecEjiiPN8subgUtil4SubgILi256EEE:
	.asciz	"int sop::sopFactorTrivialCubeRec(unsigned int, int, int, subgUtil::Subg<SUBG_CAP> *)"
	.size	__PRETTY_FUNCTION__._ZN3sop23sopFactorTrivialCubeRecEjiiPN8subgUtil4SubgILi256EEE, 85

	.type	.str.37,@object                 ; @.str.37
.str.37:
	.asciz	"iLit != -1"
	.size	.str.37, 11

	.type	.str.38,@object                 ; @.str.38
.str.38:
	.asciz	"cSop->nCubes >= cDiv->nCubes"
	.size	.str.38, 29

	.type	__PRETTY_FUNCTION__._ZN3sop17sopDivideInternalEPNS_3SopES1_S1_S1_P7VecsMemIjLi8192EE,@object ; @__PRETTY_FUNCTION__._ZN3sop17sopDivideInternalEPNS_3SopES1_S1_S1_P7VecsMemIjLi8192EE
__PRETTY_FUNCTION__._ZN3sop17sopDivideInternalEPNS_3SopES1_S1_S1_P7VecsMemIjLi8192EE:
	.asciz	"void sop::sopDivideInternal(Sop *, Sop *, Sop *, Sop *, VecsMem<unsigned int, ISOP_FACTOR_MEM_CAP> *)"
	.size	__PRETTY_FUNCTION__._ZN3sop17sopDivideInternalEPNS_3SopES1_S1_S1_P7VecsMemIjLi8192EE, 102

	.type	.str.39,@object                 ; @.str.39
.str.39:
	.asciz	"i2 < cSop->nCubes"
	.size	.str.39, 18

	.type	.str.40,@object                 ; @.str.40
.str.40:
	.asciz	"nCubesRem == vRem->nCubes"
	.size	.str.40, 26

	.type	.str.43,@object                 ; @.str.43
.str.43:
	.asciz	"nSize < nCap"
	.size	.str.43, 13

	.type	.str.44,@object                 ; @.str.44
.str.44:
	.asciz	"/root/src/amdgpu-assembly/repos/zjin-lcf__HeCBench/src/logic-rewrite-hip/sop.cuh"
	.size	.str.44, 81

	.type	__PRETTY_FUNCTION__._ZN8subgUtil4SubgILi256EE10addNodeAndEii,@object ; @__PRETTY_FUNCTION__._ZN8subgUtil4SubgILi256EE10addNodeAndEii
__PRETTY_FUNCTION__._ZN8subgUtil4SubgILi256EE10addNodeAndEii:
	.asciz	"int subgUtil::Subg<256>::addNodeAnd(int, int) [nCap = 256]"
	.size	__PRETTY_FUNCTION__._ZN8subgUtil4SubgILi256EE10addNodeAndEii, 59

	.type	__PRETTY_FUNCTION__._ZN8subgUtil4SubgILi256EE9addNodeOrEii,@object ; @__PRETTY_FUNCTION__._ZN8subgUtil4SubgILi256EE9addNodeOrEii
__PRETTY_FUNCTION__._ZN8subgUtil4SubgILi256EE9addNodeOrEii:
	.asciz	"int subgUtil::Subg<256>::addNodeOr(int, int) [nCap = 256]"
	.size	__PRETTY_FUNCTION__._ZN8subgUtil4SubgILi256EE9addNodeOrEii, 58

	.type	.str.45,@object                 ; @.str.45
.str.45:
	.asciz	"%d %d\n"
	.size	.str.45, 7

	.type	__PRETTY_FUNCTION__._ZN3sop18sopCommonCubeCoverEPNS_3SopES1_P7VecsMemIjLi8192EE,@object ; @__PRETTY_FUNCTION__._ZN3sop18sopCommonCubeCoverEPNS_3SopES1_P7VecsMemIjLi8192EE
__PRETTY_FUNCTION__._ZN3sop18sopCommonCubeCoverEPNS_3SopES1_P7VecsMemIjLi8192EE:
	.asciz	"void sop::sopCommonCubeCover(Sop *, Sop *, VecsMem<unsigned int, ISOP_FACTOR_MEM_CAP> *)"
	.size	__PRETTY_FUNCTION__._ZN3sop18sopCommonCubeCoverEPNS_3SopES1_P7VecsMemIjLi8192EE, 89

	.type	.str.46,@object                 ; @.str.46
.str.46:
	.asciz	"lit1 >= 0 && lit2 >= 0 && (fComp == 0 || fComp == 1) && lit1 <= lit2"
	.size	.str.46, 69

	.type	__PRETTY_FUNCTION__._ZN8subgUtil18formAndNodeKeyFlagEiii,@object ; @__PRETTY_FUNCTION__._ZN8subgUtil18formAndNodeKeyFlagEiii
__PRETTY_FUNCTION__._ZN8subgUtil18formAndNodeKeyFlagEiii:
	.asciz	"uint64 subgUtil::formAndNodeKeyFlag(const int, const int, const int)"
	.size	__PRETTY_FUNCTION__._ZN8subgUtil18formAndNodeKeyFlagEiii, 69

	.type	__hip_cuid_9bbf6fe22a91d1b5,@object ; @__hip_cuid_9bbf6fe22a91d1b5
	.section	.bss,"aw",@nobits
	.globl	__hip_cuid_9bbf6fe22a91d1b5
__hip_cuid_9bbf6fe22a91d1b5:
	.byte	0                               ; 0x0
	.size	__hip_cuid_9bbf6fe22a91d1b5, 1

	.ident	"AMD clang version 22.0.0git (https://github.com/RadeonOpenCompute/llvm-project roc-7.2.4 26084 f58b06dce1f9c15707c5f808fd002e18c2accf7e)"
	.section	".note.GNU-stack","",@progbits
	.addrsig
	.addrsig_sym __hip_cuid_9bbf6fe22a91d1b5
	.amdgpu_metadata
---
amdhsa.kernels:
  - .args:
      - .address_space:  global
        .offset:         0
        .size:           8
        .value_kind:     global_buffer
      - .address_space:  global
        .offset:         8
        .size:           8
        .value_kind:     global_buffer
      - .address_space:  global
        .offset:         16
        .size:           8
        .value_kind:     global_buffer
      - .address_space:  global
        .offset:         24
        .size:           8
        .value_kind:     global_buffer
      - .address_space:  global
        .offset:         32
        .size:           8
        .value_kind:     global_buffer
      - .address_space:  global
        .offset:         40
        .size:           8
        .value_kind:     global_buffer
      - .offset:         48
        .size:           4
        .value_kind:     by_value
      - .address_space:  global
        .offset:         56
        .size:           8
        .value_kind:     global_buffer
      - .address_space:  global
        .offset:         64
        .size:           8
        .value_kind:     global_buffer
      - .address_space:  global
        .offset:         72
        .size:           8
        .value_kind:     global_buffer
      - .address_space:  global
        .offset:         80
        .size:           8
        .value_kind:     global_buffer
      - .address_space:  global
        .offset:         88
        .size:           8
        .value_kind:     global_buffer
      - .address_space:  global
        .offset:         96
        .size:           8
        .value_kind:     global_buffer
      - .address_space:  global
        .offset:         104
        .size:           8
        .value_kind:     global_buffer
      - .address_space:  global
        .offset:         112
        .size:           8
        .value_kind:     global_buffer
      - .offset:         120
        .size:           4
        .value_kind:     by_value
      - .offset:         124
        .size:           4
        .value_kind:     by_value
      - .offset:         128
        .size:           4
        .value_kind:     hidden_block_count_x
      - .offset:         132
        .size:           4
        .value_kind:     hidden_block_count_y
      - .offset:         136
        .size:           4
        .value_kind:     hidden_block_count_z
      - .offset:         140
        .size:           2
        .value_kind:     hidden_group_size_x
      - .offset:         142
        .size:           2
        .value_kind:     hidden_group_size_y
      - .offset:         144
        .size:           2
        .value_kind:     hidden_group_size_z
      - .offset:         146
        .size:           2
        .value_kind:     hidden_remainder_x
      - .offset:         148
        .size:           2
        .value_kind:     hidden_remainder_y
      - .offset:         150
        .size:           2
        .value_kind:     hidden_remainder_z
      - .offset:         168
        .size:           8
        .value_kind:     hidden_global_offset_x
      - .offset:         176
        .size:           8
        .value_kind:     hidden_global_offset_y
      - .offset:         184
        .size:           8
        .value_kind:     hidden_global_offset_z
      - .offset:         192
        .size:           2
        .value_kind:     hidden_grid_dims
      - .offset:         208
        .size:           8
        .value_kind:     hidden_hostcall_buffer
    .group_segment_fixed_size: 0
    .kernarg_segment_align: 8
    .kernarg_segment_size: 384
    .language:       OpenCL C
    .language_version:
      - 2
      - 0
    .max_flat_workgroup_size: 1024
    .name:           _Z8resynCutPKiS0_S0_S0_PKyPKjiS0_PyPiS6_S6_PjS0_S4_ii
    .private_segment_fixed_size: 41408
    .sgpr_count:     107
    .sgpr_spill_count: 126
    .symbol:         _Z8resynCutPKiS0_S0_S0_PKyPKjiS0_PyPiS6_S6_PjS0_S4_ii.kd
    .uniform_work_group_size: 1
    .uses_dynamic_stack: true
    .vgpr_count:     93
    .vgpr_spill_count: 0
    .wavefront_size: 32
    .workgroup_processor_mode: 1
  - .args:
      - .address_space:  global
        .offset:         0
        .size:           8
        .value_kind:     global_buffer
      - .address_space:  global
        .offset:         8
        .size:           8
        .value_kind:     global_buffer
      - .address_space:  global
        .offset:         16
        .size:           8
        .value_kind:     global_buffer
      - .address_space:  global
        .offset:         24
        .size:           8
        .value_kind:     global_buffer
      - .address_space:  global
        .offset:         32
        .size:           8
        .value_kind:     global_buffer
      - .address_space:  global
        .offset:         40
        .size:           8
        .value_kind:     global_buffer
      - .address_space:  global
        .offset:         48
        .size:           8
        .value_kind:     global_buffer
      - .address_space:  global
        .offset:         56
        .size:           8
        .value_kind:     global_buffer
      - .address_space:  global
        .offset:         64
        .size:           8
        .value_kind:     global_buffer
      - .address_space:  global
        .offset:         72
        .size:           8
        .value_kind:     global_buffer
      - .offset:         80
        .size:           4
        .value_kind:     by_value
      - .offset:         88
        .size:           4
        .value_kind:     hidden_block_count_x
      - .offset:         92
        .size:           4
        .value_kind:     hidden_block_count_y
      - .offset:         96
        .size:           4
        .value_kind:     hidden_block_count_z
      - .offset:         100
        .size:           2
        .value_kind:     hidden_group_size_x
      - .offset:         102
        .size:           2
        .value_kind:     hidden_group_size_y
      - .offset:         104
        .size:           2
        .value_kind:     hidden_group_size_z
      - .offset:         106
        .size:           2
        .value_kind:     hidden_remainder_x
      - .offset:         108
        .size:           2
        .value_kind:     hidden_remainder_y
      - .offset:         110
        .size:           2
        .value_kind:     hidden_remainder_z
      - .offset:         128
        .size:           8
        .value_kind:     hidden_global_offset_x
      - .offset:         136
        .size:           8
        .value_kind:     hidden_global_offset_y
      - .offset:         144
        .size:           8
        .value_kind:     hidden_global_offset_z
      - .offset:         152
        .size:           2
        .value_kind:     hidden_grid_dims
      - .offset:         168
        .size:           8
        .value_kind:     hidden_hostcall_buffer
    .group_segment_fixed_size: 0
    .kernarg_segment_align: 8
    .kernarg_segment_size: 344
    .language:       OpenCL C
    .language_version:
      - 2
      - 0
    .max_flat_workgroup_size: 1024
    .name:           _Z15factorFromTruthPKiS0_PyPiS2_S2_PKjS4_S0_S4_i
    .private_segment_fixed_size: 35264
    .sgpr_count:     107
    .sgpr_spill_count: 5
    .symbol:         _Z15factorFromTruthPKiS0_PyPiS2_S2_PKjS4_S0_S4_i.kd
    .uniform_work_group_size: 1
    .uses_dynamic_stack: true
    .vgpr_count:     80
    .vgpr_spill_count: 0
    .wavefront_size: 32
    .workgroup_processor_mode: 1
amdhsa.target:   amdgcn-amd-amdhsa--gfx1030
amdhsa.version:
  - 1
  - 2
...

	.end_amdgpu_metadata
